;; amdgpu-corpus repo=ROCm/rocFFT kind=compiled arch=gfx1030 opt=O3
	.text
	.amdgcn_target "amdgcn-amd-amdhsa--gfx1030"
	.amdhsa_code_object_version 6
	.protected	bluestein_single_back_len680_dim1_dp_op_CI_CI ; -- Begin function bluestein_single_back_len680_dim1_dp_op_CI_CI
	.globl	bluestein_single_back_len680_dim1_dp_op_CI_CI
	.p2align	8
	.type	bluestein_single_back_len680_dim1_dp_op_CI_CI,@function
bluestein_single_back_len680_dim1_dp_op_CI_CI: ; @bluestein_single_back_len680_dim1_dp_op_CI_CI
; %bb.0:
	s_mov_b64 s[62:63], s[2:3]
	s_mov_b64 s[60:61], s[0:1]
	s_load_dwordx4 s[0:3], s[4:5], 0x28
	v_mul_u32_u24_e32 v1, 0x3c4, v0
	s_add_u32 s60, s60, s7
	s_addc_u32 s61, s61, 0
	v_lshrrev_b32_e32 v1, 16, v1
	v_mad_u64_u32 v[156:157], null, s6, 3, v[1:2]
	v_mov_b32_e32 v157, 0
                                        ; kill: def $vgpr2 killed $sgpr0 killed $exec
	s_waitcnt lgkmcnt(0)
	v_cmp_gt_u64_e32 vcc_lo, s[0:1], v[156:157]
	s_and_saveexec_b32 s0, vcc_lo
	s_cbranch_execz .LBB0_23
; %bb.1:
	v_mul_hi_u32 v2, 0xaaaaaaab, v156
	v_mul_lo_u16 v1, 0x44, v1
	s_clause 0x1
	s_load_dwordx2 s[12:13], s[4:5], 0x0
	s_load_dwordx2 s[14:15], s[4:5], 0x38
	v_sub_nc_u16 v0, v0, v1
	v_lshrrev_b32_e32 v2, 1, v2
	v_and_b32_e32 v238, 0xffff, v0
	v_cmp_gt_u16_e32 vcc_lo, 40, v0
	v_lshl_add_u32 v2, v2, 1, v2
	v_or_b32_e32 v0, 0x140, v238
	v_sub_nc_u32_e32 v1, v156, v2
	buffer_store_dword v0, off, s[60:63], 0 offset:68 ; 4-byte Folded Spill
	v_mul_u32_u24_e32 v235, 0x2a8, v1
	v_lshlrev_b32_e32 v0, 4, v235
	buffer_store_dword v0, off, s[60:63], 0 offset:32 ; 4-byte Folded Spill
	v_or_b32_e32 v0, 0x280, v238
	buffer_store_dword v0, off, s[60:63], 0 offset:64 ; 4-byte Folded Spill
	s_and_saveexec_b32 s1, vcc_lo
	s_cbranch_execz .LBB0_3
; %bb.2:
	s_load_dwordx2 s[6:7], s[4:5], 0x18
	v_lshlrev_b32_e32 v154, 4, v238
	v_or_b32_e32 v50, 0x140, v238
	v_or_b32_e32 v47, 0x280, v238
	s_waitcnt lgkmcnt(0)
	v_add_co_u32 v22, s0, s12, v154
	v_add_co_ci_u32_e64 v23, null, s13, 0, s0
	v_lshlrev_b32_e32 v16, 4, v50
	v_add_co_u32 v36, s0, 0x800, v22
	v_add_co_ci_u32_e64 v37, s0, 0, v23, s0
	v_add_co_u32 v48, s0, 0x1000, v22
	v_add_co_ci_u32_e64 v49, s0, 0, v23, s0
	v_add_co_u32 v68, s0, 0x1800, v22
	s_load_dwordx4 s[8:11], s[6:7], 0x0
	v_add_co_ci_u32_e64 v69, s0, 0, v23, s0
	v_add_co_u32 v128, s0, 0x2000, v22
	v_add_co_ci_u32_e64 v129, s0, 0, v23, s0
	v_lshlrev_b32_e32 v26, 4, v47
	s_clause 0x4
	global_load_dwordx4 v[0:3], v154, s[12:13]
	global_load_dwordx4 v[4:7], v154, s[12:13] offset:640
	global_load_dwordx4 v[8:11], v154, s[12:13] offset:1280
	;; [unrolled: 1-line block ×3, first 2 shown]
	global_load_dwordx4 v[16:19], v16, s[12:13]
	s_waitcnt lgkmcnt(0)
	v_mad_u64_u32 v[32:33], null, s10, v156, 0
	v_mad_u64_u32 v[34:35], null, s8, v238, 0
	s_mul_i32 s6, s9, 0x280
	s_mul_hi_u32 s7, s8, 0x280
	s_mul_i32 s10, s8, 0x280
	s_add_i32 s7, s7, s6
	v_mov_b32_e32 v20, v33
	v_mad_u64_u32 v[41:42], null, s8, v47, 0
	v_mov_b32_e32 v21, v35
	v_mad_u64_u32 v[24:25], null, s11, v156, v[20:21]
	v_mad_u64_u32 v[38:39], null, s9, v238, v[21:22]
	global_load_dwordx4 v[20:23], v26, s[12:13]
	v_mad_u64_u32 v[39:40], null, s8, v50, 0
	v_mov_b32_e32 v33, v24
	s_clause 0x1
	global_load_dwordx4 v[24:27], v[36:37], off offset:512
	global_load_dwordx4 v[28:31], v[36:37], off offset:1152
	v_mov_b32_e32 v35, v38
	v_lshlrev_b64 v[32:33], 4, v[32:33]
	v_lshlrev_b64 v[34:35], 4, v[34:35]
	v_add_co_u32 v45, s0, s2, v32
	v_add_co_ci_u32_e64 v46, s0, s3, v33, s0
	v_mov_b32_e32 v32, v40
	v_add_co_u32 v43, s0, v45, v34
	v_add_co_ci_u32_e64 v44, s0, v46, v35, s0
	v_mov_b32_e32 v33, v42
	v_add_co_u32 v56, s0, v43, s10
	v_add_co_ci_u32_e64 v57, s0, s7, v44, s0
	v_mad_u64_u32 v[34:35], null, s9, v50, v[32:33]
	v_add_co_u32 v72, s0, v56, s10
	v_add_co_ci_u32_e64 v73, s0, s7, v57, s0
	v_add_co_u32 v76, s0, v72, s10
	v_add_co_ci_u32_e64 v77, s0, s7, v73, s0
	v_mad_u64_u32 v[32:33], null, s9, v47, v[33:34]
	v_add_co_u32 v80, s0, v76, s10
	v_add_co_ci_u32_e64 v81, s0, s7, v77, s0
	v_mov_b32_e32 v40, v34
	v_add_co_u32 v84, s0, v80, s10
	v_add_co_ci_u32_e64 v85, s0, s7, v81, s0
	v_mov_b32_e32 v42, v32
	v_add_co_u32 v88, s0, v84, s10
	v_add_co_ci_u32_e64 v89, s0, s7, v85, s0
	v_lshlrev_b64 v[38:39], 4, v[39:40]
	v_add_co_u32 v92, s0, v88, s10
	v_add_co_ci_u32_e64 v93, s0, s7, v89, s0
	global_load_dwordx4 v[32:35], v[36:37], off offset:1792
	v_lshlrev_b64 v[36:37], 4, v[41:42]
	v_add_co_u32 v40, s0, v45, v38
	v_mad_u64_u32 v[96:97], null, 0x500, s8, v[92:93]
	v_add_co_ci_u32_e64 v41, s0, v46, v39, s0
	v_add_co_u32 v52, s0, v45, v36
	v_add_co_ci_u32_e64 v53, s0, v46, v37, s0
	v_mov_b32_e32 v60, v97
	s_clause 0x1
	global_load_dwordx4 v[36:39], v[43:44], off
	global_load_dwordx4 v[40:43], v[40:41], off
	s_clause 0x1
	global_load_dwordx4 v[44:47], v[48:49], off offset:384
	global_load_dwordx4 v[48:51], v[48:49], off offset:1664
	s_clause 0x1
	global_load_dwordx4 v[52:55], v[52:53], off
	global_load_dwordx4 v[56:59], v[56:57], off
	v_add_co_u32 v100, s0, v96, s10
	v_mad_u64_u32 v[94:95], null, 0x500, s9, v[60:61]
	s_clause 0x2
	global_load_dwordx4 v[60:63], v[68:69], off offset:256
	global_load_dwordx4 v[64:67], v[68:69], off offset:896
	global_load_dwordx4 v[68:71], v[68:69], off offset:1536
	s_clause 0x2
	global_load_dwordx4 v[72:75], v[72:73], off
	global_load_dwordx4 v[76:79], v[76:77], off
	;; [unrolled: 1-line block ×5, first 2 shown]
	v_mov_b32_e32 v97, v94
	global_load_dwordx4 v[92:95], v[92:93], off
	v_add_co_ci_u32_e64 v101, s0, s7, v97, s0
	v_add_co_u32 v104, s0, v100, s10
	global_load_dwordx4 v[96:99], v[96:97], off
	v_add_co_ci_u32_e64 v105, s0, s7, v101, s0
	v_add_co_u32 v108, s0, v104, s10
	;; [unrolled: 3-line block ×5, first 2 shown]
	global_load_dwordx4 v[112:115], v[112:113], off
	v_add_co_ci_u32_e64 v133, s0, s7, v125, s0
	s_clause 0x1
	global_load_dwordx4 v[116:119], v[128:129], off offset:128
	global_load_dwordx4 v[120:123], v[128:129], off offset:768
	global_load_dwordx4 v[124:127], v[124:125], off
	global_load_dwordx4 v[128:131], v[128:129], off offset:1408
	global_load_dwordx4 v[132:135], v[132:133], off
	s_waitcnt vmcnt(24)
	v_mul_f64 v[136:137], v[38:39], v[2:3]
	v_mul_f64 v[2:3], v[36:37], v[2:3]
	s_waitcnt vmcnt(23)
	v_mul_f64 v[138:139], v[42:43], v[18:19]
	v_mul_f64 v[18:19], v[40:41], v[18:19]
	;; [unrolled: 3-line block ×5, first 2 shown]
	v_mul_f64 v[140:141], v[54:55], v[22:23]
	v_mul_f64 v[152:153], v[52:53], v[22:23]
	s_waitcnt vmcnt(13)
	v_mul_f64 v[22:23], v[82:83], v[26:27]
	v_mul_f64 v[26:27], v[80:81], v[26:27]
	v_fma_f64 v[36:37], v[36:37], v[0:1], v[136:137]
	v_fma_f64 v[38:39], v[38:39], v[0:1], -v[2:3]
	v_fma_f64 v[0:1], v[40:41], v[16:17], v[138:139]
	v_fma_f64 v[2:3], v[42:43], v[16:17], -v[18:19]
	s_waitcnt vmcnt(12)
	v_mul_f64 v[18:19], v[86:87], v[30:31]
	v_mul_f64 v[30:31], v[84:85], v[30:31]
	v_fma_f64 v[14:15], v[56:57], v[4:5], v[142:143]
	v_fma_f64 v[16:17], v[58:59], v[4:5], -v[144:145]
	s_waitcnt vmcnt(11)
	v_mul_f64 v[4:5], v[90:91], v[34:35]
	v_mul_f64 v[34:35], v[88:89], v[34:35]
	;; [unrolled: 5-line block ×3, first 2 shown]
	s_waitcnt vmcnt(9)
	v_mul_f64 v[56:57], v[98:99], v[50:51]
	v_mul_f64 v[58:59], v[96:97], v[50:51]
	s_waitcnt vmcnt(8)
	v_mul_f64 v[72:73], v[102:103], v[62:63]
	v_mul_f64 v[62:63], v[100:101], v[62:63]
	s_waitcnt vmcnt(7)
	v_mul_f64 v[74:75], v[106:107], v[66:67]
	v_mul_f64 v[66:67], v[104:105], v[66:67]
	v_fma_f64 v[10:11], v[76:77], v[12:13], v[148:149]
	s_waitcnt vmcnt(6)
	v_mul_f64 v[76:77], v[110:111], v[70:71]
	v_mul_f64 v[70:71], v[108:109], v[70:71]
	v_fma_f64 v[12:13], v[78:79], v[12:13], -v[150:151]
	s_waitcnt vmcnt(4)
	v_mul_f64 v[78:79], v[114:115], v[118:119]
	v_mul_f64 v[118:119], v[112:113], v[118:119]
	s_waitcnt vmcnt(2)
	v_mul_f64 v[136:137], v[126:127], v[122:123]
	v_mul_f64 v[122:123], v[124:125], v[122:123]
	;; [unrolled: 3-line block ×3, first 2 shown]
	v_fma_f64 v[22:23], v[80:81], v[24:25], v[22:23]
	v_fma_f64 v[24:25], v[82:83], v[24:25], -v[26:27]
	v_fma_f64 v[26:27], v[84:85], v[28:29], v[18:19]
	v_fma_f64 v[28:29], v[86:87], v[28:29], -v[30:31]
	v_fma_f64 v[30:31], v[88:89], v[32:33], v[4:5]
	v_fma_f64 v[32:33], v[90:91], v[32:33], -v[34:35]
	v_fma_f64 v[6:7], v[52:53], v[20:21], v[140:141]
	v_fma_f64 v[50:51], v[92:93], v[44:45], v[8:9]
	v_fma_f64 v[52:53], v[94:95], v[44:45], -v[46:47]
	v_fma_f64 v[44:45], v[96:97], v[48:49], v[56:57]
	v_fma_f64 v[46:47], v[98:99], v[48:49], -v[58:59]
	;; [unrolled: 2-line block ×5, first 2 shown]
	v_lshlrev_b32_e32 v5, 4, v235
	v_fma_f64 v[68:69], v[112:113], v[116:117], v[78:79]
	v_fma_f64 v[70:71], v[114:115], v[116:117], -v[118:119]
	v_fma_f64 v[72:73], v[124:125], v[120:121], v[136:137]
	v_fma_f64 v[74:75], v[126:127], v[120:121], -v[122:123]
	;; [unrolled: 2-line block ×3, first 2 shown]
	v_fma_f64 v[8:9], v[54:55], v[20:21], -v[152:153]
	v_lshl_add_u32 v4, v238, 4, v5
	v_add_nc_u32_e32 v5, v5, v154
	ds_write_b128 v4, v[36:39]
	ds_write_b128 v5, v[0:3] offset:5120
	ds_write_b128 v5, v[14:17] offset:640
	;; [unrolled: 1-line block ×16, first 2 shown]
.LBB0_3:
	s_or_b32 exec_lo, exec_lo, s1
                                        ; implicit-def: $vgpr0_vgpr1
	s_waitcnt lgkmcnt(0)
	s_waitcnt_vscnt null, 0x0
	s_barrier
	buffer_gl0_inv
                                        ; implicit-def: $vgpr28_vgpr29
                                        ; implicit-def: $vgpr48_vgpr49
                                        ; implicit-def: $vgpr52_vgpr53
                                        ; implicit-def: $vgpr64_vgpr65
                                        ; implicit-def: $vgpr76_vgpr77
                                        ; implicit-def: $vgpr44_vgpr45
                                        ; implicit-def: $vgpr40_vgpr41
                                        ; implicit-def: $vgpr36_vgpr37
                                        ; implicit-def: $vgpr32_vgpr33
                                        ; implicit-def: $vgpr24_vgpr25
	buffer_store_dword v0, off, s[60:63], 0 offset:36 ; 4-byte Folded Spill
	buffer_store_dword v1, off, s[60:63], 0 offset:40 ; 4-byte Folded Spill
	;; [unrolled: 1-line block ×4, first 2 shown]
                                        ; implicit-def: $vgpr84_vgpr85
                                        ; implicit-def: $vgpr80_vgpr81
                                        ; implicit-def: $vgpr72_vgpr73
                                        ; implicit-def: $vgpr68_vgpr69
                                        ; implicit-def: $vgpr60_vgpr61
                                        ; implicit-def: $vgpr56_vgpr57
	s_and_saveexec_b32 s0, vcc_lo
	s_cbranch_execz .LBB0_5
; %bb.4:
	v_lshlrev_b32_e32 v0, 4, v238
	v_lshl_add_u32 v0, v235, 4, v0
	ds_read_b128 v[28:31], v0
	ds_read_b128 v[56:59], v0 offset:640
	ds_read_b128 v[60:63], v0 offset:1280
	;; [unrolled: 1-line block ×16, first 2 shown]
	s_waitcnt lgkmcnt(0)
	buffer_store_dword v0, off, s[60:63], 0 offset:36 ; 4-byte Folded Spill
	buffer_store_dword v1, off, s[60:63], 0 offset:40 ; 4-byte Folded Spill
	;; [unrolled: 1-line block ×4, first 2 shown]
.LBB0_5:
	s_or_b32 exec_lo, exec_lo, s0
	s_clause 0x3
	buffer_load_dword v0, off, s[60:63], 0 offset:36
	buffer_load_dword v1, off, s[60:63], 0 offset:40
	;; [unrolled: 1-line block ×4, first 2 shown]
	v_add_f64 v[112:113], v[60:61], -v[24:25]
	s_mov_b32 s42, 0xeb564b22
	s_mov_b32 s43, 0xbfefdd0d
	;; [unrolled: 1-line block ×4, first 2 shown]
	v_add_f64 v[114:115], v[62:63], -v[26:27]
	s_mov_b32 s0, 0x370991
	s_mov_b32 s46, 0x2a9d6da3
	;; [unrolled: 1-line block ×4, first 2 shown]
	v_add_f64 v[104:105], v[24:25], v[60:61]
	s_mov_b32 s6, 0x75d4884
	s_mov_b32 s7, 0x3fe7a5f6
	v_add_f64 v[106:107], v[26:27], v[62:63]
	s_mov_b32 s20, 0x3259b75e
	s_mov_b32 s21, 0x3fb79ee6
	;; [unrolled: 1-line block ×8, first 2 shown]
	v_mul_f64 v[118:119], v[112:113], s[42:43]
	v_mul_f64 v[249:250], v[112:113], s[46:47]
	s_mov_b32 s18, 0x6ed5f1bb
	s_mov_b32 s19, 0xbfe348c8
	;; [unrolled: 1-line block ×3, first 2 shown]
	v_mul_f64 v[247:248], v[114:115], s[46:47]
	v_mul_f64 v[251:252], v[114:115], s[42:43]
	s_mov_b32 s35, 0xbfc7851a
	s_mov_b32 s16, 0x7faef3
	;; [unrolled: 1-line block ×14, first 2 shown]
	buffer_store_dword v118, off, s[60:63], 0 offset:56 ; 4-byte Folded Spill
	buffer_store_dword v119, off, s[60:63], 0 offset:60 ; 4-byte Folded Spill
	s_mov_b32 s48, s24
	s_mov_b32 s29, 0x3feca52d
	;; [unrolled: 1-line block ×4, first 2 shown]
	v_fma_f64 v[116:117], v[104:105], s[6:7], v[247:248]
	s_mov_b32 s44, s40
	v_add_f64 v[157:158], v[48:49], v[32:33]
	v_add_f64 v[159:160], v[50:51], v[34:35]
	s_mov_b32 s39, 0x3fc7851a
	s_mov_b32 s38, s34
	v_add_f64 v[185:186], v[52:53], v[36:37]
	v_add_f64 v[189:190], v[54:55], v[38:39]
	s_mov_b32 s53, 0x3fe9895b
	s_mov_b32 s52, s26
	v_add_f64 v[128:129], v[70:71], -v[42:43]
	v_add_f64 v[124:125], v[68:69], -v[40:41]
	v_add_f64 v[215:216], v[40:41], v[68:69]
	v_add_f64 v[219:220], v[42:43], v[70:71]
	v_add_f64 v[132:133], v[74:75], -v[46:47]
	v_add_f64 v[239:240], v[44:45], v[72:73]
	v_add_f64 v[243:244], v[46:47], v[74:75]
	v_add_f64 v[173:174], v[66:67], -v[86:87]
	v_add_f64 v[169:170], v[64:65], -v[84:85]
	v_add_f64 v[231:232], v[76:77], -v[80:81]
	v_add_f64 v[233:234], v[78:79], -v[82:83]
	s_load_dwordx2 s[2:3], s[4:5], 0x20
	v_mul_f64 v[253:254], v[128:129], s[36:37]
	v_mul_f64 v[126:127], v[124:125], s[40:41]
	;; [unrolled: 1-line block ×11, first 2 shown]
	s_waitcnt vmcnt(0)
	v_add_f64 v[110:111], v[2:3], v[58:59]
	v_add_f64 v[2:3], v[58:59], -v[2:3]
	v_add_f64 v[108:109], v[0:1], v[56:57]
	v_add_f64 v[0:1], v[56:57], -v[0:1]
	v_mul_f64 v[136:137], v[2:3], s[40:41]
	v_mul_f64 v[144:145], v[2:3], s[46:47]
	;; [unrolled: 1-line block ×16, first 2 shown]
	v_fma_f64 v[4:5], v[108:109], s[0:1], v[136:137]
	v_fma_f64 v[8:9], v[108:109], s[6:7], v[144:145]
	v_fma_f64 v[6:7], v[110:111], s[0:1], -v[140:141]
	v_fma_f64 v[10:11], v[110:111], s[6:7], -v[148:149]
	v_fma_f64 v[12:13], v[108:109], s[8:9], v[152:153]
	v_fma_f64 v[14:15], v[110:111], s[8:9], -v[163:164]
	v_fma_f64 v[16:17], v[108:109], s[20:21], v[171:172]
	;; [unrolled: 2-line block ×5, first 2 shown]
	v_fma_f64 v[98:99], v[110:111], s[10:11], -v[245:246]
	v_fma_f64 v[100:101], v[108:109], s[16:17], -v[2:3]
	v_fma_f64 v[2:3], v[108:109], s[16:17], v[2:3]
	v_fma_f64 v[102:103], v[110:111], s[16:17], v[0:1]
	v_fma_f64 v[0:1], v[110:111], s[16:17], -v[0:1]
	v_add_f64 v[4:5], v[28:29], v[4:5]
	v_add_f64 v[8:9], v[28:29], v[8:9]
	;; [unrolled: 1-line block ×19, first 2 shown]
	v_fma_f64 v[116:117], v[106:107], s[6:7], -v[249:250]
	v_add_f64 v[6:7], v[116:117], v[6:7]
	v_fma_f64 v[116:117], v[104:105], s[20:21], v[251:252]
	v_add_f64 v[8:9], v[116:117], v[8:9]
	v_fma_f64 v[116:117], v[106:107], s[20:21], -v[118:119]
	v_mul_f64 v[118:119], v[112:113], s[26:27]
	v_add_f64 v[10:11], v[116:117], v[10:11]
	v_mul_f64 v[116:117], v[114:115], s[26:27]
	buffer_store_dword v116, off, s[60:63], 0 offset:72 ; 4-byte Folded Spill
	buffer_store_dword v117, off, s[60:63], 0 offset:76 ; 4-byte Folded Spill
	buffer_store_dword v118, off, s[60:63], 0 offset:80 ; 4-byte Folded Spill
	buffer_store_dword v119, off, s[60:63], 0 offset:84 ; 4-byte Folded Spill
	v_fma_f64 v[116:117], v[104:105], s[18:19], v[116:117]
	v_add_f64 v[12:13], v[116:117], v[12:13]
	v_fma_f64 v[116:117], v[106:107], s[18:19], -v[118:119]
	v_mul_f64 v[118:119], v[112:113], s[34:35]
	v_add_f64 v[14:15], v[116:117], v[14:15]
	v_mul_f64 v[116:117], v[114:115], s[34:35]
	buffer_store_dword v116, off, s[60:63], 0 offset:88 ; 4-byte Folded Spill
	buffer_store_dword v117, off, s[60:63], 0 offset:92 ; 4-byte Folded Spill
	buffer_store_dword v118, off, s[60:63], 0 offset:96 ; 4-byte Folded Spill
	buffer_store_dword v119, off, s[60:63], 0 offset:100 ; 4-byte Folded Spill
	v_fma_f64 v[116:117], v[104:105], s[16:17], v[116:117]
	v_add_f64 v[16:17], v[116:117], v[16:17]
	v_fma_f64 v[116:117], v[106:107], s[16:17], -v[118:119]
	v_mul_f64 v[118:119], v[112:113], s[50:51]
	v_add_f64 v[18:19], v[116:117], v[18:19]
	v_mul_f64 v[116:117], v[114:115], s[50:51]
	buffer_store_dword v116, off, s[60:63], 0 offset:104 ; 4-byte Folded Spill
	buffer_store_dword v117, off, s[60:63], 0 offset:108 ; 4-byte Folded Spill
	buffer_store_dword v118, off, s[60:63], 0 offset:112 ; 4-byte Folded Spill
	buffer_store_dword v119, off, s[60:63], 0 offset:116 ; 4-byte Folded Spill
	v_fma_f64 v[116:117], v[104:105], s[10:11], v[116:117]
	v_add_f64 v[88:89], v[116:117], v[88:89]
	v_fma_f64 v[116:117], v[106:107], s[10:11], -v[118:119]
	v_mul_f64 v[118:119], v[112:113], s[48:49]
	v_add_f64 v[90:91], v[116:117], v[90:91]
	v_mul_f64 v[116:117], v[114:115], s[48:49]
	buffer_store_dword v116, off, s[60:63], 0 offset:120 ; 4-byte Folded Spill
	buffer_store_dword v117, off, s[60:63], 0 offset:124 ; 4-byte Folded Spill
	buffer_store_dword v118, off, s[60:63], 0 offset:128 ; 4-byte Folded Spill
	buffer_store_dword v119, off, s[60:63], 0 offset:132 ; 4-byte Folded Spill
	v_fma_f64 v[116:117], v[104:105], s[22:23], v[116:117]
	v_add_f64 v[92:93], v[116:117], v[92:93]
	v_fma_f64 v[116:117], v[106:107], s[22:23], -v[118:119]
	v_mul_f64 v[118:119], v[112:113], s[28:29]
	v_mul_f64 v[112:113], v[112:113], s[44:45]
	v_add_f64 v[94:95], v[116:117], v[94:95]
	v_mul_f64 v[116:117], v[114:115], s[28:29]
	v_mul_f64 v[114:115], v[114:115], s[44:45]
	buffer_store_dword v116, off, s[60:63], 0 offset:136 ; 4-byte Folded Spill
	buffer_store_dword v117, off, s[60:63], 0 offset:140 ; 4-byte Folded Spill
	buffer_store_dword v118, off, s[60:63], 0 offset:144 ; 4-byte Folded Spill
	buffer_store_dword v119, off, s[60:63], 0 offset:148 ; 4-byte Folded Spill
	v_fma_f64 v[116:117], v[104:105], s[8:9], v[116:117]
	v_add_f64 v[96:97], v[116:117], v[96:97]
	v_fma_f64 v[116:117], v[106:107], s[8:9], -v[118:119]
	v_add_f64 v[98:99], v[116:117], v[98:99]
	v_fma_f64 v[116:117], v[104:105], s[0:1], -v[114:115]
	v_fma_f64 v[114:115], v[104:105], s[0:1], v[114:115]
	v_add_f64 v[100:101], v[116:117], v[100:101]
	v_fma_f64 v[116:117], v[106:107], s[0:1], v[112:113]
	v_add_f64 v[2:3], v[114:115], v[2:3]
	v_fma_f64 v[112:113], v[106:107], s[0:1], -v[112:113]
	v_add_f64 v[114:115], v[50:51], -v[34:35]
	v_add_f64 v[102:103], v[116:117], v[102:103]
	v_add_f64 v[0:1], v[112:113], v[0:1]
	v_add_f64 v[112:113], v[48:49], -v[32:33]
	v_mul_f64 v[116:117], v[114:115], s[36:37]
	buffer_store_dword v116, off, s[60:63], 0 offset:152 ; 4-byte Folded Spill
	buffer_store_dword v117, off, s[60:63], 0 offset:156 ; 4-byte Folded Spill
	v_mul_f64 v[118:119], v[112:113], s[36:37]
	buffer_store_dword v118, off, s[60:63], 0 offset:160 ; 4-byte Folded Spill
	buffer_store_dword v119, off, s[60:63], 0 offset:164 ; 4-byte Folded Spill
	v_fma_f64 v[116:117], v[157:158], s[8:9], v[116:117]
	v_add_f64 v[4:5], v[116:117], v[4:5]
	v_fma_f64 v[116:117], v[159:160], s[8:9], -v[118:119]
	v_mul_f64 v[118:119], v[112:113], s[26:27]
	v_add_f64 v[6:7], v[116:117], v[6:7]
	v_mul_f64 v[116:117], v[114:115], s[26:27]
	buffer_store_dword v116, off, s[60:63], 0 offset:168 ; 4-byte Folded Spill
	buffer_store_dword v117, off, s[60:63], 0 offset:172 ; 4-byte Folded Spill
	;; [unrolled: 1-line block ×4, first 2 shown]
	v_fma_f64 v[116:117], v[157:158], s[18:19], v[116:117]
	v_add_f64 v[8:9], v[116:117], v[8:9]
	v_fma_f64 v[116:117], v[159:160], s[18:19], -v[118:119]
	v_mul_f64 v[118:119], v[112:113], s[38:39]
	v_add_f64 v[10:11], v[116:117], v[10:11]
	v_mul_f64 v[116:117], v[114:115], s[38:39]
	buffer_store_dword v116, off, s[60:63], 0 offset:176 ; 4-byte Folded Spill
	buffer_store_dword v117, off, s[60:63], 0 offset:180 ; 4-byte Folded Spill
	;; [unrolled: 1-line block ×4, first 2 shown]
	s_mov_b32 s39, 0x3fe58eea
	s_mov_b32 s38, s46
	v_mul_f64 v[199:200], v[173:174], s[38:39]
	v_mul_f64 v[201:202], v[169:170], s[38:39]
	v_fma_f64 v[116:117], v[157:158], s[16:17], v[116:117]
	v_add_f64 v[12:13], v[116:117], v[12:13]
	v_fma_f64 v[116:117], v[159:160], s[16:17], -v[118:119]
	v_mul_f64 v[118:119], v[112:113], s[48:49]
	v_add_f64 v[14:15], v[116:117], v[14:15]
	v_mul_f64 v[116:117], v[114:115], s[48:49]
	buffer_store_dword v116, off, s[60:63], 0 offset:200 ; 4-byte Folded Spill
	buffer_store_dword v117, off, s[60:63], 0 offset:204 ; 4-byte Folded Spill
	buffer_store_dword v118, off, s[60:63], 0 offset:208 ; 4-byte Folded Spill
	buffer_store_dword v119, off, s[60:63], 0 offset:212 ; 4-byte Folded Spill
	v_fma_f64 v[116:117], v[157:158], s[22:23], v[116:117]
	v_add_f64 v[16:17], v[116:117], v[16:17]
	v_fma_f64 v[116:117], v[159:160], s[22:23], -v[118:119]
	v_mul_f64 v[118:119], v[112:113], s[38:39]
	v_add_f64 v[18:19], v[116:117], v[18:19]
	v_mul_f64 v[116:117], v[114:115], s[38:39]
	buffer_store_dword v116, off, s[60:63], 0 offset:216 ; 4-byte Folded Spill
	buffer_store_dword v117, off, s[60:63], 0 offset:220 ; 4-byte Folded Spill
	buffer_store_dword v118, off, s[60:63], 0 offset:224 ; 4-byte Folded Spill
	buffer_store_dword v119, off, s[60:63], 0 offset:228 ; 4-byte Folded Spill
	v_fma_f64 v[116:117], v[157:158], s[6:7], v[116:117]
	v_add_f64 v[88:89], v[116:117], v[88:89]
	v_fma_f64 v[116:117], v[159:160], s[6:7], -v[118:119]
	v_mul_f64 v[118:119], v[112:113], s[40:41]
	v_add_f64 v[90:91], v[116:117], v[90:91]
	v_mul_f64 v[116:117], v[114:115], s[40:41]
	buffer_store_dword v116, off, s[60:63], 0 offset:232 ; 4-byte Folded Spill
	buffer_store_dword v117, off, s[60:63], 0 offset:236 ; 4-byte Folded Spill
	buffer_store_dword v118, off, s[60:63], 0 offset:240 ; 4-byte Folded Spill
	buffer_store_dword v119, off, s[60:63], 0 offset:244 ; 4-byte Folded Spill
	v_fma_f64 v[116:117], v[157:158], s[0:1], v[116:117]
	v_add_f64 v[92:93], v[116:117], v[92:93]
	v_fma_f64 v[116:117], v[159:160], s[0:1], -v[118:119]
	v_mul_f64 v[118:119], v[112:113], s[42:43]
	v_mul_f64 v[112:113], v[112:113], s[30:31]
	v_add_f64 v[94:95], v[116:117], v[94:95]
	v_mul_f64 v[116:117], v[114:115], s[42:43]
	buffer_store_dword v116, off, s[60:63], 0 offset:248 ; 4-byte Folded Spill
	buffer_store_dword v117, off, s[60:63], 0 offset:252 ; 4-byte Folded Spill
	;; [unrolled: 1-line block ×4, first 2 shown]
	v_mul_f64 v[114:115], v[114:115], s[30:31]
	v_fma_f64 v[116:117], v[157:158], s[20:21], v[116:117]
	v_add_f64 v[96:97], v[116:117], v[96:97]
	v_fma_f64 v[116:117], v[159:160], s[20:21], -v[118:119]
	v_add_f64 v[98:99], v[116:117], v[98:99]
	v_fma_f64 v[116:117], v[157:158], s[10:11], -v[114:115]
	v_fma_f64 v[114:115], v[157:158], s[10:11], v[114:115]
	v_add_f64 v[100:101], v[116:117], v[100:101]
	v_fma_f64 v[116:117], v[159:160], s[10:11], v[112:113]
	v_add_f64 v[2:3], v[114:115], v[2:3]
	v_fma_f64 v[112:113], v[159:160], s[10:11], -v[112:113]
	v_add_f64 v[114:115], v[54:55], -v[38:39]
	v_add_f64 v[102:103], v[116:117], v[102:103]
	v_add_f64 v[0:1], v[112:113], v[0:1]
	v_add_f64 v[112:113], v[52:53], -v[36:37]
	v_mul_f64 v[116:117], v[114:115], s[42:43]
	buffer_store_dword v116, off, s[60:63], 0 offset:264 ; 4-byte Folded Spill
	buffer_store_dword v117, off, s[60:63], 0 offset:268 ; 4-byte Folded Spill
	v_mul_f64 v[118:119], v[112:113], s[42:43]
	buffer_store_dword v118, off, s[60:63], 0 offset:272 ; 4-byte Folded Spill
	buffer_store_dword v119, off, s[60:63], 0 offset:276 ; 4-byte Folded Spill
	v_fma_f64 v[116:117], v[185:186], s[20:21], v[116:117]
	v_add_f64 v[4:5], v[116:117], v[4:5]
	v_fma_f64 v[116:117], v[189:190], s[20:21], -v[118:119]
	v_mul_f64 v[118:119], v[112:113], s[34:35]
	v_add_f64 v[6:7], v[116:117], v[6:7]
	v_mul_f64 v[116:117], v[114:115], s[34:35]
	buffer_store_dword v116, off, s[60:63], 0 offset:280 ; 4-byte Folded Spill
	buffer_store_dword v117, off, s[60:63], 0 offset:284 ; 4-byte Folded Spill
	buffer_store_dword v118, off, s[60:63], 0 offset:288 ; 4-byte Folded Spill
	buffer_store_dword v119, off, s[60:63], 0 offset:292 ; 4-byte Folded Spill
	v_fma_f64 v[116:117], v[185:186], s[16:17], v[116:117]
	v_add_f64 v[8:9], v[116:117], v[8:9]
	v_fma_f64 v[116:117], v[189:190], s[16:17], -v[118:119]
	v_mul_f64 v[118:119], v[112:113], s[48:49]
	v_add_f64 v[10:11], v[116:117], v[10:11]
	v_mul_f64 v[116:117], v[114:115], s[48:49]
	buffer_store_dword v116, off, s[60:63], 0 offset:296 ; 4-byte Folded Spill
	buffer_store_dword v117, off, s[60:63], 0 offset:300 ; 4-byte Folded Spill
	;; [unrolled: 10-line block ×5, first 2 shown]
	buffer_store_dword v118, off, s[60:63], 0 offset:352 ; 4-byte Folded Spill
	buffer_store_dword v119, off, s[60:63], 0 offset:356 ; 4-byte Folded Spill
	v_fma_f64 v[116:117], v[185:186], s[10:11], v[116:117]
	v_add_f64 v[92:93], v[116:117], v[92:93]
	v_fma_f64 v[116:117], v[189:190], s[10:11], -v[118:119]
	v_mul_f64 v[118:119], v[112:113], s[52:53]
	v_mul_f64 v[112:113], v[112:113], s[38:39]
	v_add_f64 v[94:95], v[116:117], v[94:95]
	v_mul_f64 v[116:117], v[114:115], s[52:53]
	buffer_store_dword v116, off, s[60:63], 0 offset:360 ; 4-byte Folded Spill
	buffer_store_dword v117, off, s[60:63], 0 offset:364 ; 4-byte Folded Spill
	;; [unrolled: 1-line block ×4, first 2 shown]
	v_mul_f64 v[114:115], v[114:115], s[38:39]
	v_fma_f64 v[116:117], v[185:186], s[18:19], v[116:117]
	v_add_f64 v[96:97], v[116:117], v[96:97]
	v_fma_f64 v[116:117], v[189:190], s[18:19], -v[118:119]
	v_add_f64 v[98:99], v[116:117], v[98:99]
	v_fma_f64 v[116:117], v[185:186], s[6:7], -v[114:115]
	v_fma_f64 v[114:115], v[185:186], s[6:7], v[114:115]
	v_add_f64 v[100:101], v[116:117], v[100:101]
	v_fma_f64 v[116:117], v[189:190], s[6:7], v[112:113]
	v_fma_f64 v[112:113], v[189:190], s[6:7], -v[112:113]
	v_add_f64 v[2:3], v[114:115], v[2:3]
	v_mul_f64 v[114:115], v[124:125], s[24:25]
	v_add_f64 v[102:103], v[116:117], v[102:103]
	v_add_f64 v[0:1], v[112:113], v[0:1]
	v_mul_f64 v[112:113], v[128:129], s[24:25]
	buffer_store_dword v112, off, s[60:63], 0 offset:376 ; 4-byte Folded Spill
	buffer_store_dword v113, off, s[60:63], 0 offset:380 ; 4-byte Folded Spill
	;; [unrolled: 1-line block ×4, first 2 shown]
	v_mul_f64 v[116:117], v[124:125], s[34:35]
	v_fma_f64 v[112:113], v[215:216], s[22:23], v[112:113]
	v_add_f64 v[4:5], v[112:113], v[4:5]
	v_fma_f64 v[112:113], v[219:220], s[22:23], -v[114:115]
	v_mul_f64 v[114:115], v[124:125], s[50:51]
	v_add_f64 v[6:7], v[112:113], v[6:7]
	v_mul_f64 v[112:113], v[128:129], s[50:51]
	buffer_store_dword v112, off, s[60:63], 0 offset:392 ; 4-byte Folded Spill
	buffer_store_dword v113, off, s[60:63], 0 offset:396 ; 4-byte Folded Spill
	;; [unrolled: 1-line block ×4, first 2 shown]
	v_fma_f64 v[112:113], v[215:216], s[10:11], v[112:113]
	v_add_f64 v[8:9], v[112:113], v[8:9]
	v_fma_f64 v[112:113], v[219:220], s[10:11], -v[114:115]
	v_mul_f64 v[114:115], v[124:125], s[38:39]
	v_add_f64 v[10:11], v[112:113], v[10:11]
	v_mul_f64 v[112:113], v[128:129], s[38:39]
	buffer_store_dword v112, off, s[60:63], 0 offset:408 ; 4-byte Folded Spill
	buffer_store_dword v113, off, s[60:63], 0 offset:412 ; 4-byte Folded Spill
	;; [unrolled: 1-line block ×4, first 2 shown]
	v_fma_f64 v[112:113], v[215:216], s[6:7], v[112:113]
	v_add_f64 v[12:13], v[112:113], v[12:13]
	v_fma_f64 v[112:113], v[219:220], s[6:7], -v[114:115]
	v_fma_f64 v[114:115], v[215:216], s[8:9], v[253:254]
	v_add_f64 v[14:15], v[112:113], v[14:15]
	v_mul_f64 v[112:113], v[124:125], s[36:37]
	v_add_f64 v[16:17], v[114:115], v[16:17]
	s_mov_b32 s37, 0x3fefdd0d
	s_mov_b32 s36, s42
	v_mul_f64 v[120:121], v[124:125], s[36:37]
	v_mul_f64 v[124:125], v[124:125], s[26:27]
	v_fma_f64 v[114:115], v[219:220], s[8:9], -v[112:113]
	v_add_f64 v[18:19], v[114:115], v[18:19]
	v_mul_f64 v[114:115], v[128:129], s[34:35]
	v_fma_f64 v[118:119], v[215:216], s[16:17], v[114:115]
	v_add_f64 v[88:89], v[118:119], v[88:89]
	v_fma_f64 v[118:119], v[219:220], s[16:17], -v[116:117]
	v_add_f64 v[90:91], v[118:119], v[90:91]
	v_mul_f64 v[118:119], v[128:129], s[36:37]
	v_fma_f64 v[122:123], v[215:216], s[20:21], v[118:119]
	v_add_f64 v[92:93], v[122:123], v[92:93]
	v_fma_f64 v[122:123], v[219:220], s[20:21], -v[120:121]
	v_add_f64 v[94:95], v[122:123], v[94:95]
	v_mul_f64 v[122:123], v[128:129], s[40:41]
	v_mul_f64 v[128:129], v[128:129], s[26:27]
	v_fma_f64 v[130:131], v[215:216], s[0:1], v[122:123]
	v_add_f64 v[96:97], v[130:131], v[96:97]
	v_fma_f64 v[130:131], v[219:220], s[0:1], -v[126:127]
	v_add_f64 v[98:99], v[130:131], v[98:99]
	v_fma_f64 v[130:131], v[215:216], s[18:19], -v[128:129]
	v_fma_f64 v[128:129], v[215:216], s[18:19], v[128:129]
	v_add_f64 v[100:101], v[130:131], v[100:101]
	v_fma_f64 v[130:131], v[219:220], s[18:19], v[124:125]
	v_fma_f64 v[124:125], v[219:220], s[18:19], -v[124:125]
	v_add_f64 v[2:3], v[128:129], v[2:3]
	v_mul_f64 v[128:129], v[132:133], s[26:27]
	v_add_f64 v[102:103], v[130:131], v[102:103]
	v_add_f64 v[130:131], v[72:73], -v[44:45]
	v_add_f64 v[0:1], v[124:125], v[0:1]
	v_fma_f64 v[134:135], v[239:240], s[18:19], v[128:129]
	v_mul_f64 v[124:125], v[130:131], s[30:31]
	buffer_store_dword v124, off, s[60:63], 0 offset:424 ; 4-byte Folded Spill
	buffer_store_dword v125, off, s[60:63], 0 offset:428 ; 4-byte Folded Spill
	v_mul_f64 v[193:194], v[130:131], s[26:27]
	v_add_f64 v[4:5], v[134:135], v[4:5]
	v_mul_f64 v[203:204], v[130:131], s[48:49]
	v_mul_f64 v[205:206], v[130:131], s[40:41]
	;; [unrolled: 1-line block ×4, first 2 shown]
	v_fma_f64 v[134:135], v[243:244], s[18:19], -v[193:194]
	v_add_f64 v[6:7], v[134:135], v[6:7]
	v_mul_f64 v[134:135], v[132:133], s[48:49]
	v_fma_f64 v[138:139], v[239:240], s[22:23], v[134:135]
	v_add_f64 v[8:9], v[138:139], v[8:9]
	v_fma_f64 v[138:139], v[243:244], s[22:23], -v[203:204]
	v_add_f64 v[10:11], v[138:139], v[10:11]
	v_mul_f64 v[138:139], v[132:133], s[40:41]
	v_fma_f64 v[142:143], v[239:240], s[0:1], v[138:139]
	v_add_f64 v[12:13], v[142:143], v[12:13]
	;; [unrolled: 5-line block ×3, first 2 shown]
	v_fma_f64 v[146:147], v[243:244], s[10:11], -v[124:125]
	v_mul_f64 v[124:125], v[130:131], s[36:37]
	buffer_store_dword v124, off, s[60:63], 0 offset:432 ; 4-byte Folded Spill
	buffer_store_dword v125, off, s[60:63], 0 offset:436 ; 4-byte Folded Spill
	v_add_f64 v[18:19], v[146:147], v[18:19]
	v_mul_f64 v[146:147], v[132:133], s[36:37]
	v_mul_f64 v[132:133], v[132:133], s[28:29]
	;; [unrolled: 1-line block ×3, first 2 shown]
	v_fma_f64 v[150:151], v[239:240], s[20:21], v[146:147]
	v_add_f64 v[88:89], v[150:151], v[88:89]
	v_fma_f64 v[150:151], v[243:244], s[20:21], -v[124:125]
	v_mul_lo_u16 v124, v238, 17
	v_add_f64 v[90:91], v[150:151], v[90:91]
	v_fma_f64 v[150:151], v[239:240], s[6:7], v[154:155]
	v_add_f64 v[92:93], v[150:151], v[92:93]
	v_fma_f64 v[150:151], v[243:244], s[6:7], -v[165:166]
	v_add_f64 v[94:95], v[150:151], v[94:95]
	v_fma_f64 v[150:151], v[239:240], s[16:17], v[177:178]
	v_add_f64 v[96:97], v[150:151], v[96:97]
	v_fma_f64 v[150:151], v[243:244], s[16:17], -v[187:188]
	v_add_f64 v[98:99], v[150:151], v[98:99]
	v_fma_f64 v[150:151], v[239:240], s[8:9], -v[132:133]
	v_fma_f64 v[132:133], v[239:240], s[8:9], v[132:133]
	v_add_f64 v[100:101], v[150:151], v[100:101]
	v_fma_f64 v[150:151], v[243:244], s[8:9], v[130:131]
	v_fma_f64 v[130:131], v[243:244], s[8:9], -v[130:131]
	v_add_f64 v[2:3], v[132:133], v[2:3]
	v_add_f64 v[132:133], v[66:67], v[86:87]
	;; [unrolled: 1-line block ×5, first 2 shown]
	v_mul_f64 v[150:151], v[173:174], s[30:31]
	v_fma_f64 v[161:162], v[130:131], s[10:11], v[150:151]
	v_add_f64 v[4:5], v[161:162], v[4:5]
	v_fma_f64 v[161:162], v[132:133], s[10:11], -v[213:214]
	v_add_f64 v[6:7], v[161:162], v[6:7]
	v_mul_f64 v[161:162], v[173:174], s[28:29]
	v_fma_f64 v[167:168], v[130:131], s[8:9], v[161:162]
	v_add_f64 v[207:208], v[167:168], v[8:9]
	v_fma_f64 v[8:9], v[132:133], s[8:9], -v[221:222]
	v_mul_f64 v[167:168], v[173:174], s[42:43]
	v_add_f64 v[209:210], v[8:9], v[10:11]
	v_mul_f64 v[10:11], v[169:170], s[42:43]
	buffer_store_dword v10, off, s[60:63], 0 offset:440 ; 4-byte Folded Spill
	buffer_store_dword v11, off, s[60:63], 0 offset:444 ; 4-byte Folded Spill
	v_fma_f64 v[8:9], v[130:131], s[20:21], v[167:168]
	v_add_f64 v[8:9], v[8:9], v[12:13]
	v_mul_f64 v[12:13], v[173:174], s[52:53]
	buffer_store_dword v12, off, s[60:63], 0 offset:448 ; 4-byte Folded Spill
	buffer_store_dword v13, off, s[60:63], 0 offset:452 ; 4-byte Folded Spill
	v_fma_f64 v[10:11], v[132:133], s[20:21], -v[10:11]
	v_add_f64 v[10:11], v[10:11], v[14:15]
	v_mul_f64 v[14:15], v[169:170], s[52:53]
	buffer_store_dword v14, off, s[60:63], 0 offset:456 ; 4-byte Folded Spill
	buffer_store_dword v15, off, s[60:63], 0 offset:460 ; 4-byte Folded Spill
	v_fma_f64 v[12:13], v[130:131], s[18:19], v[12:13]
	v_add_f64 v[12:13], v[12:13], v[16:17]
	v_mul_f64 v[16:17], v[173:174], s[40:41]
	buffer_store_dword v16, off, s[60:63], 0 offset:464 ; 4-byte Folded Spill
	buffer_store_dword v17, off, s[60:63], 0 offset:468 ; 4-byte Folded Spill
	v_mul_f64 v[173:174], v[173:174], s[24:25]
	v_fma_f64 v[14:15], v[132:133], s[18:19], -v[14:15]
	v_add_f64 v[14:15], v[14:15], v[18:19]
	v_mul_f64 v[18:19], v[169:170], s[40:41]
	buffer_store_dword v18, off, s[60:63], 0 offset:472 ; 4-byte Folded Spill
	buffer_store_dword v19, off, s[60:63], 0 offset:476 ; 4-byte Folded Spill
	v_fma_f64 v[16:17], v[130:131], s[0:1], v[16:17]
	v_mul_f64 v[169:170], v[169:170], s[24:25]
	v_add_f64 v[16:17], v[16:17], v[88:89]
	v_fma_f64 v[88:89], v[130:131], s[16:17], v[195:196]
	v_add_f64 v[88:89], v[88:89], v[92:93]
	v_fma_f64 v[92:93], v[130:131], s[6:7], v[199:200]
	v_add_f64 v[92:93], v[92:93], v[96:97]
	v_fma_f64 v[96:97], v[130:131], s[22:23], -v[173:174]
	v_add_f64 v[96:97], v[96:97], v[100:101]
	v_fma_f64 v[100:101], v[130:131], s[22:23], v[173:174]
	v_add_f64 v[173:174], v[78:79], v[82:83]
	v_add_f64 v[100:101], v[100:101], v[2:3]
	v_fma_f64 v[2:3], v[132:133], s[22:23], -v[169:170]
	v_fma_f64 v[18:19], v[132:133], s[0:1], -v[18:19]
	v_add_f64 v[18:19], v[18:19], v[90:91]
	v_fma_f64 v[90:91], v[132:133], s[16:17], -v[197:198]
	v_add_f64 v[90:91], v[90:91], v[94:95]
	;; [unrolled: 2-line block ×3, first 2 shown]
	v_fma_f64 v[98:99], v[132:133], s[22:23], v[169:170]
	v_add_f64 v[169:170], v[76:77], v[80:81]
	v_add_f64 v[98:99], v[98:99], v[102:103]
	;; [unrolled: 1-line block ×3, first 2 shown]
	v_mul_f64 v[0:1], v[233:234], s[34:35]
	v_mul_f64 v[2:3], v[231:232], s[34:35]
	buffer_store_dword v0, off, s[60:63], 0 offset:480 ; 4-byte Folded Spill
	buffer_store_dword v1, off, s[60:63], 0 offset:484 ; 4-byte Folded Spill
	;; [unrolled: 1-line block ×4, first 2 shown]
	v_fma_f64 v[223:224], v[169:170], s[18:19], v[22:23]
	v_add_f64 v[16:17], v[223:224], v[16:17]
	v_fma_f64 v[0:1], v[169:170], s[16:17], v[0:1]
	v_fma_f64 v[2:3], v[173:174], s[16:17], -v[2:3]
	v_add_f64 v[0:1], v[0:1], v[4:5]
	v_add_f64 v[2:3], v[2:3], v[6:7]
	buffer_store_dword v0, off, s[60:63], 0 ; 4-byte Folded Spill
	buffer_store_dword v1, off, s[60:63], 0 offset:4 ; 4-byte Folded Spill
	buffer_store_dword v2, off, s[60:63], 0 offset:8 ; 4-byte Folded Spill
	;; [unrolled: 1-line block ×3, first 2 shown]
	v_mul_f64 v[0:1], v[233:234], s[44:45]
	v_mul_f64 v[2:3], v[231:232], s[44:45]
	buffer_store_dword v0, off, s[60:63], 0 offset:496 ; 4-byte Folded Spill
	buffer_store_dword v1, off, s[60:63], 0 offset:500 ; 4-byte Folded Spill
	;; [unrolled: 1-line block ×4, first 2 shown]
	v_fma_f64 v[4:5], v[169:170], s[0:1], v[0:1]
	v_fma_f64 v[6:7], v[173:174], s[0:1], -v[2:3]
	v_add_f64 v[0:1], v[4:5], v[207:208]
	v_mul_f64 v[4:5], v[233:234], s[30:31]
	v_add_f64 v[2:3], v[6:7], v[209:210]
	v_mul_f64 v[6:7], v[231:232], s[30:31]
	buffer_store_dword v0, off, s[60:63], 0 offset:16 ; 4-byte Folded Spill
	buffer_store_dword v1, off, s[60:63], 0 offset:20 ; 4-byte Folded Spill
	;; [unrolled: 1-line block ×4, first 2 shown]
	v_fma_f64 v[211:212], v[169:170], s[10:11], v[4:5]
	v_mul_f64 v[207:208], v[233:234], s[38:39]
	s_waitcnt lgkmcnt(0)
	s_waitcnt_vscnt null, 0x0
	s_barrier
	buffer_gl0_inv
	buffer_store_dword v124, off, s[60:63], 0 offset:52 ; 4-byte Folded Spill
	v_add_f64 v[0:1], v[211:212], v[8:9]
	v_fma_f64 v[211:212], v[173:174], s[10:11], -v[6:7]
	v_mul_f64 v[8:9], v[231:232], s[38:39]
	v_fma_f64 v[217:218], v[169:170], s[6:7], v[207:208]
	v_add_f64 v[2:3], v[211:212], v[10:11]
	v_mul_f64 v[10:11], v[231:232], s[26:27]
	v_mul_f64 v[231:232], v[231:232], s[36:37]
	v_add_f64 v[12:13], v[217:218], v[12:13]
	v_fma_f64 v[217:218], v[173:174], s[6:7], -v[8:9]
	v_fma_f64 v[223:224], v[173:174], s[18:19], -v[10:11]
	v_add_f64 v[14:15], v[217:218], v[14:15]
	v_add_f64 v[18:19], v[223:224], v[18:19]
	v_mul_f64 v[223:224], v[233:234], s[28:29]
	v_fma_f64 v[227:228], v[169:170], s[8:9], v[223:224]
	v_add_f64 v[88:89], v[227:228], v[88:89]
	v_fma_f64 v[227:228], v[173:174], s[8:9], -v[225:226]
	v_add_f64 v[90:91], v[227:228], v[90:91]
	v_mul_f64 v[227:228], v[233:234], s[24:25]
	v_mul_f64 v[233:234], v[233:234], s[36:37]
	v_fma_f64 v[236:237], v[169:170], s[22:23], v[227:228]
	v_add_f64 v[92:93], v[236:237], v[92:93]
	v_fma_f64 v[236:237], v[173:174], s[22:23], -v[229:230]
	v_add_f64 v[94:95], v[236:237], v[94:95]
	v_fma_f64 v[236:237], v[169:170], s[20:21], -v[233:234]
	v_fma_f64 v[233:234], v[169:170], s[20:21], v[233:234]
	v_add_f64 v[96:97], v[236:237], v[96:97]
	v_fma_f64 v[236:237], v[173:174], s[20:21], v[231:232]
	v_fma_f64 v[231:232], v[173:174], s[20:21], -v[231:232]
	v_add_f64 v[100:101], v[233:234], v[100:101]
	v_add_f64 v[98:99], v[236:237], v[98:99]
	;; [unrolled: 1-line block ×3, first 2 shown]
	s_and_saveexec_b32 s24, vcc_lo
	s_cbranch_execz .LBB0_7
; %bb.6:
	v_add_f64 v[58:59], v[30:31], v[58:59]
	v_add_f64 v[56:57], v[28:29], v[56:57]
	v_mul_f64 v[231:232], v[157:158], s[6:7]
	v_mul_f64 v[233:234], v[104:105], s[10:11]
	;; [unrolled: 1-line block ×3, first 2 shown]
	v_mov_b32_e32 v218, v151
	v_mov_b32_e32 v217, v150
	;; [unrolled: 1-line block ×4, first 2 shown]
	v_mul_f64 v[249:250], v[157:158], s[22:23]
	v_mov_b32_e32 v212, v135
	v_mov_b32_e32 v211, v134
	;; [unrolled: 1-line block ×4, first 2 shown]
	v_add_f64 v[58:59], v[62:63], v[58:59]
	v_add_f64 v[56:57], v[60:61], v[56:57]
	v_mul_f64 v[62:63], v[108:109], s[6:7]
	v_mul_f64 v[60:61], v[110:111], s[6:7]
	v_add_f64 v[112:113], v[112:113], v[236:237]
	v_mul_f64 v[236:237], v[189:190], s[0:1]
	v_add_f64 v[50:51], v[50:51], v[58:59]
	v_add_f64 v[48:49], v[48:49], v[56:57]
	v_mul_f64 v[58:59], v[108:109], s[8:9]
	v_add_f64 v[62:63], v[62:63], -v[144:145]
	v_mul_f64 v[56:57], v[110:111], s[8:9]
	v_add_f64 v[60:61], v[148:149], v[60:61]
	v_mov_b32_e32 v148, v247
	v_mov_b32_e32 v149, v248
	v_mul_f64 v[247:248], v[215:216], s[8:9]
	v_add_f64 v[50:51], v[54:55], v[50:51]
	v_add_f64 v[48:49], v[52:53], v[48:49]
	v_mul_f64 v[54:55], v[108:109], s[20:21]
	v_add_f64 v[58:59], v[58:59], -v[152:153]
	v_add_f64 v[62:63], v[28:29], v[62:63]
	v_mul_f64 v[52:53], v[110:111], s[20:21]
	v_mov_b32_e32 v152, v251
	v_mov_b32_e32 v153, v252
	v_add_f64 v[247:248], v[247:248], -v[253:254]
	v_mul_f64 v[253:254], v[185:186], s[0:1]
	v_mul_f64 v[251:252], v[104:105], s[16:17]
	v_add_f64 v[56:57], v[163:164], v[56:57]
	v_add_f64 v[60:61], v[30:31], v[60:61]
	;; [unrolled: 1-line block ×4, first 2 shown]
	v_add_f64 v[54:55], v[54:55], -v[171:172]
	v_add_f64 v[58:59], v[28:29], v[58:59]
	v_add_f64 v[52:53], v[175:176], v[52:53]
	;; [unrolled: 1-line block ×9, first 2 shown]
	v_mul_f64 v[66:67], v[108:109], s[0:1]
	v_mul_f64 v[64:65], v[110:111], s[0:1]
	v_add_f64 v[50:51], v[78:79], v[50:51]
	v_add_f64 v[48:49], v[76:77], v[48:49]
	v_add_f64 v[66:67], v[66:67], -v[136:137]
	v_add_f64 v[64:65], v[140:141], v[64:65]
	v_add_f64 v[50:51], v[82:83], v[50:51]
	;; [unrolled: 1-line block ×8, first 2 shown]
	v_mul_f64 v[50:51], v[108:109], s[22:23]
	v_add_f64 v[44:45], v[44:45], v[48:49]
	v_mul_f64 v[48:49], v[110:111], s[22:23]
	v_add_f64 v[42:43], v[42:43], v[46:47]
	v_mul_f64 v[46:47], v[108:109], s[18:19]
	v_add_f64 v[50:51], v[50:51], -v[179:180]
	v_add_f64 v[40:41], v[40:41], v[44:45]
	v_mul_f64 v[44:45], v[110:111], s[18:19]
	v_add_f64 v[48:49], v[181:182], v[48:49]
	v_mov_b32_e32 v182, v147
	v_mov_b32_e32 v181, v146
	v_add_f64 v[38:39], v[38:39], v[42:43]
	v_mul_f64 v[42:43], v[108:109], s[10:11]
	v_add_f64 v[46:47], v[46:47], -v[183:184]
	v_add_f64 v[50:51], v[28:29], v[50:51]
	v_add_f64 v[36:37], v[36:37], v[40:41]
	v_mul_f64 v[40:41], v[110:111], s[10:11]
	v_add_f64 v[44:45], v[191:192], v[44:45]
	v_mov_b32_e32 v192, v143
	v_mov_b32_e32 v191, v142
	v_add_f64 v[48:49], v[30:31], v[48:49]
	v_add_f64 v[68:69], v[34:35], v[38:39]
	v_add_f64 v[42:43], v[42:43], -v[241:242]
	v_add_f64 v[46:47], v[28:29], v[46:47]
	v_mul_f64 v[34:35], v[239:240], s[16:17]
	v_add_f64 v[70:71], v[32:33], v[36:37]
	v_mul_f64 v[241:242], v[159:160], s[22:23]
	;; [unrolled: 2-line block ×3, first 2 shown]
	v_add_f64 v[44:45], v[30:31], v[44:45]
	v_add_f64 v[26:27], v[26:27], v[68:69]
	;; [unrolled: 1-line block ×3, first 2 shown]
	v_mul_f64 v[28:29], v[173:174], s[22:23]
	v_add_f64 v[84:85], v[34:35], -v[177:178]
	v_mul_f64 v[34:35], v[215:216], s[0:1]
	v_add_f64 v[68:69], v[24:25], v[70:71]
	v_add_f64 v[40:41], v[30:31], v[40:41]
	v_add_f64 v[20:21], v[229:230], v[28:29]
	v_mul_f64 v[28:29], v[132:133], s[6:7]
	v_add_f64 v[86:87], v[34:35], -v[122:123]
	v_mul_f64 v[34:35], v[185:186], s[18:19]
	v_mul_f64 v[229:230], v[215:216], s[16:17]
	buffer_store_dword v20, off, s[60:63], 0 offset:512 ; 4-byte Folded Spill
	buffer_store_dword v21, off, s[60:63], 0 offset:516 ; 4-byte Folded Spill
	s_clause 0x1
	buffer_load_dword v32, off, s[60:63], 0 offset:368
	buffer_load_dword v33, off, s[60:63], 0 offset:372
	v_add_f64 v[72:73], v[201:202], v[28:29]
	v_mul_f64 v[28:29], v[243:244], s[16:17]
	v_mul_f64 v[201:202], v[104:105], s[22:23]
	v_add_f64 v[114:115], v[229:230], -v[114:115]
	v_mul_f64 v[229:230], v[185:186], s[8:9]
	v_add_f64 v[74:75], v[187:188], v[28:29]
	v_mul_f64 v[28:29], v[219:220], s[0:1]
	v_add_f64 v[76:77], v[126:127], v[28:29]
	v_mul_f64 v[28:29], v[189:190], s[18:19]
	s_waitcnt vmcnt(0)
	v_add_f64 v[78:79], v[32:33], v[28:29]
	s_clause 0x1
	buffer_load_dword v32, off, s[60:63], 0 offset:256
	buffer_load_dword v33, off, s[60:63], 0 offset:260
	v_mul_f64 v[28:29], v[159:160], s[20:21]
	s_waitcnt vmcnt(0)
	v_add_f64 v[80:81], v[32:33], v[28:29]
	s_clause 0x1
	buffer_load_dword v32, off, s[60:63], 0 offset:144
	buffer_load_dword v33, off, s[60:63], 0 offset:148
	v_mul_f64 v[28:29], v[106:107], s[8:9]
	s_waitcnt vmcnt(0)
	v_add_f64 v[82:83], v[32:33], v[28:29]
	v_mul_f64 v[28:29], v[169:170], s[22:23]
	v_mul_f64 v[32:33], v[130:131], s[6:7]
	v_add_f64 v[40:41], v[82:83], v[40:41]
	v_add_f64 v[20:21], v[28:29], -v[227:228]
	v_mul_f64 v[227:228], v[106:107], s[10:11]
	v_mov_b32_e32 v31, v3
	v_mov_b32_e32 v30, v2
	;; [unrolled: 1-line block ×8, first 2 shown]
	v_mul_f64 v[82:83], v[239:240], s[0:1]
	buffer_store_dword v20, off, s[60:63], 0 offset:144 ; 4-byte Folded Spill
	buffer_store_dword v21, off, s[60:63], 0 offset:148 ; 4-byte Folded Spill
	v_add_f64 v[20:21], v[32:33], -v[199:200]
	v_mul_f64 v[199:200], v[157:158], s[0:1]
	v_add_f64 v[40:41], v[80:81], v[40:41]
	v_mul_f64 v[80:81], v[243:244], s[22:23]
	buffer_store_dword v20, off, s[60:63], 0 offset:256 ; 4-byte Folded Spill
	buffer_store_dword v21, off, s[60:63], 0 offset:260 ; 4-byte Folded Spill
	s_clause 0x1
	buffer_load_dword v36, off, s[60:63], 0 offset:360
	buffer_load_dword v37, off, s[60:63], 0 offset:364
	v_add_f64 v[40:41], v[78:79], v[40:41]
	v_add_f64 v[80:81], v[203:204], v[80:81]
	v_mul_f64 v[78:79], v[239:240], s[22:23]
	v_add_f64 v[82:83], v[82:83], -v[209:210]
	v_add_f64 v[40:41], v[76:77], v[40:41]
	v_mul_f64 v[76:77], v[243:244], s[18:19]
	v_add_f64 v[78:79], v[78:79], -v[211:212]
	v_add_f64 v[40:41], v[74:75], v[40:41]
	v_mul_f64 v[74:75], v[239:240], s[18:19]
	v_add_f64 v[76:77], v[193:194], v[76:77]
	v_add_f64 v[40:41], v[72:73], v[40:41]
	v_mul_f64 v[72:73], v[132:133], s[0:1]
	s_waitcnt vmcnt(0)
	v_add_f64 v[108:109], v[34:35], -v[36:37]
	s_clause 0x1
	buffer_load_dword v36, off, s[60:63], 0 offset:248
	buffer_load_dword v37, off, s[60:63], 0 offset:252
	v_mul_f64 v[34:35], v[157:158], s[20:21]
	s_waitcnt vmcnt(0)
	v_add_f64 v[110:111], v[34:35], -v[36:37]
	s_clause 0x3
	buffer_load_dword v36, off, s[60:63], 0 offset:136
	buffer_load_dword v37, off, s[60:63], 0 offset:140
	buffer_load_dword v38, off, s[60:63], 0 offset:352
	buffer_load_dword v39, off, s[60:63], 0 offset:356
	v_mul_f64 v[34:35], v[104:105], s[8:9]
	s_waitcnt vmcnt(2)
	v_add_f64 v[122:123], v[34:35], -v[36:37]
	v_mul_f64 v[36:37], v[132:133], s[16:17]
	v_mul_f64 v[34:35], v[173:174], s[8:9]
	v_add_f64 v[42:43], v[122:123], v[42:43]
	v_add_f64 v[126:127], v[197:198], v[36:37]
	v_mul_f64 v[36:37], v[243:244], s[6:7]
	v_add_f64 v[32:33], v[225:226], v[34:35]
	v_mul_f64 v[225:226], v[159:160], s[6:7]
	;; [unrolled: 2-line block ×4, first 2 shown]
	v_add_f64 v[42:43], v[108:109], v[42:43]
	v_add_f64 v[110:111], v[221:222], v[110:111]
	v_mul_f64 v[108:109], v[130:131], s[20:21]
	v_add_f64 v[120:121], v[120:121], v[36:37]
	v_mul_f64 v[36:37], v[189:190], s[10:11]
	;; [unrolled: 2-line block ×3, first 2 shown]
	v_add_f64 v[108:109], v[108:109], -v[2:3]
	s_waitcnt vmcnt(0)
	v_add_f64 v[177:178], v[38:39], v[36:37]
	s_clause 0x1
	buffer_load_dword v38, off, s[60:63], 0 offset:240
	buffer_load_dword v39, off, s[60:63], 0 offset:244
	v_mul_f64 v[36:37], v[159:160], s[0:1]
	v_add_f64 v[42:43], v[84:85], v[42:43]
	v_mul_f64 v[84:85], v[130:131], s[0:1]
	s_waitcnt vmcnt(0)
	v_add_f64 v[187:188], v[38:39], v[36:37]
	s_clause 0x1
	buffer_load_dword v38, off, s[60:63], 0 offset:128
	buffer_load_dword v39, off, s[60:63], 0 offset:132
	v_mul_f64 v[36:37], v[106:107], s[22:23]
	s_waitcnt vmcnt(0)
	v_add_f64 v[197:198], v[38:39], v[36:37]
	v_mul_f64 v[36:37], v[169:170], s[8:9]
	v_mul_f64 v[38:39], v[130:131], s[16:17]
	v_add_f64 v[44:45], v[197:198], v[44:45]
	v_add_f64 v[20:21], v[36:37], -v[223:224]
	v_add_f64 v[38:39], v[38:39], -v[195:196]
	v_mul_f64 v[195:196], v[239:240], s[6:7]
	v_mul_f64 v[223:224], v[219:220], s[16:17]
	v_mov_b32_e32 v37, v15
	v_mov_b32_e32 v36, v14
	;; [unrolled: 1-line block ×4, first 2 shown]
	buffer_store_dword v20, off, s[60:63], 0 offset:128 ; 4-byte Folded Spill
	buffer_store_dword v21, off, s[60:63], 0 offset:132 ; 4-byte Folded Spill
	s_clause 0x1
	buffer_load_dword v124, off, s[60:63], 0 offset:344
	buffer_load_dword v125, off, s[60:63], 0 offset:348
	v_add_f64 v[154:155], v[195:196], -v[154:155]
	v_mul_f64 v[195:196], v[215:216], s[20:21]
	v_add_f64 v[116:117], v[116:117], v[223:224]
	v_mul_f64 v[223:224], v[189:190], s[8:9]
	v_mov_b32_e32 v20, v207
	v_mov_b32_e32 v21, v208
	v_mov_b32_e32 v208, v129
	v_mov_b32_e32 v207, v128
	v_add_f64 v[44:45], v[187:188], v[44:45]
	v_add_f64 v[74:75], v[74:75], -v[207:208]
	v_add_f64 v[118:119], v[195:196], -v[118:119]
	v_mul_f64 v[195:196], v[185:186], s[10:11]
	v_add_f64 v[44:45], v[177:178], v[44:45]
	v_add_f64 v[44:45], v[120:121], v[44:45]
	;; [unrolled: 1-line block ×5, first 2 shown]
	s_waitcnt vmcnt(0)
	v_add_f64 v[195:196], v[195:196], -v[124:125]
	s_clause 0x1
	buffer_load_dword v124, off, s[60:63], 0 offset:232
	buffer_load_dword v125, off, s[60:63], 0 offset:236
	s_waitcnt vmcnt(0)
	v_add_f64 v[199:200], v[199:200], -v[124:125]
	s_clause 0x1
	buffer_load_dword v124, off, s[60:63], 0 offset:120
	buffer_load_dword v125, off, s[60:63], 0 offset:124
	;; [unrolled: 5-line block ×3, first 2 shown]
	v_add_f64 v[46:47], v[201:202], v[46:47]
	v_add_f64 v[46:47], v[199:200], v[46:47]
	;; [unrolled: 1-line block ×4, first 2 shown]
	v_mul_f64 v[118:119], v[169:170], s[16:17]
	v_add_f64 v[46:47], v[154:155], v[46:47]
	s_waitcnt vmcnt(0)
	v_add_f64 v[223:224], v[124:125], v[223:224]
	s_clause 0x1
	buffer_load_dword v124, off, s[60:63], 0 offset:224
	buffer_load_dword v125, off, s[60:63], 0 offset:228
	s_waitcnt vmcnt(0)
	v_add_f64 v[225:226], v[124:125], v[225:226]
	s_clause 0x1
	buffer_load_dword v124, off, s[60:63], 0 offset:112
	buffer_load_dword v125, off, s[60:63], 0 offset:116
	;; [unrolled: 5-line block ×3, first 2 shown]
	v_add_f64 v[48:49], v[227:228], v[48:49]
	v_add_f64 v[48:49], v[225:226], v[48:49]
	;; [unrolled: 1-line block ×4, first 2 shown]
	v_mul_f64 v[116:117], v[173:174], s[16:17]
	s_waitcnt vmcnt(0)
	v_add_f64 v[229:230], v[229:230], -v[124:125]
	s_clause 0x1
	buffer_load_dword v124, off, s[60:63], 0 offset:216
	buffer_load_dword v125, off, s[60:63], 0 offset:220
	s_waitcnt vmcnt(0)
	v_add_f64 v[231:232], v[231:232], -v[124:125]
	s_clause 0x1
	buffer_load_dword v124, off, s[60:63], 0 offset:104
	buffer_load_dword v125, off, s[60:63], 0 offset:108
	;; [unrolled: 5-line block ×3, first 2 shown]
	v_add_f64 v[50:51], v[233:234], v[50:51]
	v_add_f64 v[50:51], v[231:232], v[50:51]
	;; [unrolled: 1-line block ×4, first 2 shown]
	v_mov_b32_e32 v115, v11
	v_mov_b32_e32 v114, v10
	s_waitcnt vmcnt(0)
	v_add_f64 v[236:237], v[124:125], v[236:237]
	s_clause 0x1
	buffer_load_dword v124, off, s[60:63], 0 offset:208
	buffer_load_dword v125, off, s[60:63], 0 offset:212
	s_waitcnt vmcnt(0)
	v_add_f64 v[241:242], v[124:125], v[241:242]
	s_clause 0x1
	buffer_load_dword v124, off, s[60:63], 0 offset:96
	buffer_load_dword v125, off, s[60:63], 0 offset:100
	;; [unrolled: 5-line block ×3, first 2 shown]
	v_add_f64 v[52:53], v[245:246], v[52:53]
	v_add_f64 v[52:53], v[241:242], v[52:53]
	;; [unrolled: 1-line block ×4, first 2 shown]
	v_mul_f64 v[112:113], v[132:133], s[10:11]
	v_add_f64 v[112:113], v[213:214], v[112:113]
	s_waitcnt vmcnt(0)
	v_add_f64 v[253:254], v[253:254], -v[124:125]
	s_clause 0x1
	buffer_load_dword v124, off, s[60:63], 0 offset:200
	buffer_load_dword v125, off, s[60:63], 0 offset:204
	s_waitcnt vmcnt(0)
	v_add_f64 v[249:250], v[249:250], -v[124:125]
	s_clause 0x11
	buffer_load_dword v124, off, s[60:63], 0 offset:88
	buffer_load_dword v125, off, s[60:63], 0 offset:92
	;; [unrolled: 1-line block ×18, first 2 shown]
	s_waitcnt vmcnt(16)
	v_add_f64 v[251:252], v[251:252], -v[124:125]
	v_mul_f64 v[124:125], v[219:220], s[6:7]
	v_add_f64 v[54:55], v[251:252], v[54:55]
	s_waitcnt vmcnt(14)
	v_add_f64 v[124:125], v[128:129], v[124:125]
	v_mul_f64 v[128:129], v[189:190], s[22:23]
	v_add_f64 v[54:55], v[249:250], v[54:55]
	s_waitcnt vmcnt(12)
	v_add_f64 v[128:129], v[134:135], v[128:129]
	;; [unrolled: 4-line block ×4, first 2 shown]
	v_mul_f64 v[138:139], v[185:186], s[22:23]
	v_add_f64 v[56:57], v[136:137], v[56:57]
	s_waitcnt vmcnt(6)
	v_add_f64 v[138:139], v[138:139], -v[140:141]
	v_mul_f64 v[140:141], v[104:105], s[18:19]
	v_add_f64 v[56:57], v[134:135], v[56:57]
	s_waitcnt vmcnt(4)
	v_add_f64 v[140:141], v[140:141], -v[142:143]
	v_mul_f64 v[142:143], v[159:160], s[18:19]
	v_mul_f64 v[159:160], v[159:160], s[8:9]
	v_add_f64 v[56:57], v[128:129], v[56:57]
	v_add_f64 v[58:59], v[140:141], v[58:59]
	s_waitcnt vmcnt(2)
	v_add_f64 v[142:143], v[144:145], v[142:143]
	v_mul_f64 v[144:145], v[106:107], s[20:21]
	v_mul_f64 v[106:107], v[106:107], s[6:7]
	v_add_f64 v[56:57], v[124:125], v[56:57]
	s_waitcnt vmcnt(0)
	v_add_f64 v[144:145], v[146:147], v[144:145]
	v_add_f64 v[106:107], v[150:151], v[106:107]
	s_clause 0x1
	buffer_load_dword v150, off, s[60:63], 0 offset:168
	buffer_load_dword v151, off, s[60:63], 0 offset:172
	v_mul_f64 v[146:147], v[104:105], s[20:21]
	v_mul_f64 v[104:105], v[104:105], s[6:7]
	v_add_f64 v[60:61], v[144:145], v[60:61]
	v_add_f64 v[64:65], v[106:107], v[64:65]
	v_mul_f64 v[106:107], v[132:133], s[20:21]
	v_add_f64 v[146:147], v[146:147], -v[152:153]
	v_add_f64 v[104:105], v[104:105], -v[148:149]
	v_mul_f64 v[148:149], v[157:158], s[18:19]
	v_add_f64 v[60:61], v[142:143], v[60:61]
	v_add_f64 v[62:63], v[146:147], v[62:63]
	;; [unrolled: 1-line block ×3, first 2 shown]
	v_mul_f64 v[104:105], v[130:131], s[18:19]
	s_waitcnt vmcnt(0)
	v_add_f64 v[148:149], v[148:149], -v[150:151]
	s_clause 0x3
	buffer_load_dword v150, off, s[60:63], 0 offset:160
	buffer_load_dword v151, off, s[60:63], 0 offset:164
	buffer_load_dword v152, off, s[60:63], 0 offset:152
	buffer_load_dword v153, off, s[60:63], 0 offset:156
	v_add_f64 v[62:63], v[148:149], v[62:63]
	s_waitcnt vmcnt(2)
	v_add_f64 v[159:160], v[150:151], v[159:160]
	v_mul_f64 v[150:151], v[157:158], s[8:9]
	v_mul_f64 v[157:158], v[157:158], s[16:17]
	v_add_f64 v[64:65], v[159:160], v[64:65]
	s_waitcnt vmcnt(0)
	v_add_f64 v[150:151], v[150:151], -v[152:153]
	s_clause 0x9
	buffer_load_dword v152, off, s[60:63], 0 offset:176
	buffer_load_dword v153, off, s[60:63], 0 offset:180
	;; [unrolled: 1-line block ×10, first 2 shown]
	v_add_f64 v[66:67], v[150:151], v[66:67]
	s_waitcnt vmcnt(8)
	v_add_f64 v[157:158], v[157:158], -v[152:153]
	v_mul_f64 v[152:153], v[189:190], s[16:17]
	v_mul_f64 v[189:190], v[189:190], s[20:21]
	v_add_f64 v[58:59], v[157:158], v[58:59]
	s_waitcnt vmcnt(2)
	v_add_f64 v[152:153], v[161:162], v[152:153]
	v_mul_f64 v[161:162], v[185:186], s[16:17]
	v_mul_f64 v[185:186], v[185:186], s[20:21]
	v_add_f64 v[58:59], v[138:139], v[58:59]
	v_add_f64 v[60:61], v[152:153], v[60:61]
	s_waitcnt vmcnt(0)
	v_add_f64 v[161:162], v[161:162], -v[163:164]
	s_clause 0x1
	buffer_load_dword v163, off, s[60:63], 0 offset:272
	buffer_load_dword v164, off, s[60:63], 0 offset:276
	v_add_f64 v[62:63], v[161:162], v[62:63]
	s_waitcnt vmcnt(0)
	v_add_f64 v[189:190], v[163:164], v[189:190]
	s_clause 0x7
	buffer_load_dword v163, off, s[60:63], 0 offset:264
	buffer_load_dword v164, off, s[60:63], 0 offset:268
	buffer_load_dword v167, off, s[60:63], 0 offset:408
	buffer_load_dword v168, off, s[60:63], 0 offset:412
	buffer_load_dword v171, off, s[60:63], 0 offset:400
	buffer_load_dword v172, off, s[60:63], 0 offset:404
	buffer_load_dword v175, off, s[60:63], 0 offset:392
	buffer_load_dword v176, off, s[60:63], 0 offset:396
	v_add_f64 v[64:65], v[189:190], v[64:65]
	s_waitcnt vmcnt(6)
	v_add_f64 v[185:186], v[185:186], -v[163:164]
	v_mul_f64 v[163:164], v[215:216], s[6:7]
	v_add_f64 v[66:67], v[185:186], v[66:67]
	s_waitcnt vmcnt(4)
	v_add_f64 v[163:164], v[163:164], -v[167:168]
	v_mul_f64 v[167:168], v[219:220], s[10:11]
	v_mul_f64 v[219:220], v[219:220], s[22:23]
	v_add_f64 v[58:59], v[163:164], v[58:59]
	s_waitcnt vmcnt(2)
	v_add_f64 v[167:168], v[171:172], v[167:168]
	v_mul_f64 v[171:172], v[215:216], s[10:11]
	v_mul_f64 v[215:216], v[215:216], s[22:23]
	v_add_f64 v[58:59], v[82:83], v[58:59]
	v_add_f64 v[60:61], v[167:168], v[60:61]
	s_waitcnt vmcnt(0)
	v_add_f64 v[171:172], v[171:172], -v[175:176]
	s_clause 0x1
	buffer_load_dword v175, off, s[60:63], 0 offset:384
	buffer_load_dword v176, off, s[60:63], 0 offset:388
	v_mul_f64 v[82:83], v[169:170], s[6:7]
	v_add_f64 v[70:71], v[108:109], v[58:59]
	v_add_f64 v[60:61], v[80:81], v[60:61]
	v_mul_f64 v[80:81], v[130:131], s[8:9]
	v_add_f64 v[62:63], v[171:172], v[62:63]
	v_add_f64 v[82:83], v[82:83], -v[20:21]
	v_add_f64 v[58:59], v[12:13], v[68:69]
	v_add_f64 v[60:61], v[110:111], v[60:61]
	v_mul_f64 v[110:111], v[169:170], s[0:1]
	v_add_f64 v[80:81], v[80:81], -v[0:1]
	v_add_f64 v[62:63], v[78:79], v[62:63]
	v_mul_f64 v[78:79], v[173:174], s[6:7]
	v_add_f64 v[62:63], v[80:81], v[62:63]
	v_add_f64 v[78:79], v[8:9], v[78:79]
	s_waitcnt vmcnt(0)
	v_add_f64 v[219:220], v[175:176], v[219:220]
	s_clause 0x7
	buffer_load_dword v175, off, s[60:63], 0 offset:376
	buffer_load_dword v176, off, s[60:63], 0 offset:380
	;; [unrolled: 1-line block ×8, first 2 shown]
	v_add_f64 v[64:65], v[219:220], v[64:65]
	v_add_f64 v[64:65], v[76:77], v[64:65]
	v_mul_f64 v[76:77], v[130:131], s[10:11]
	v_add_f64 v[64:65], v[112:113], v[64:65]
	v_add_f64 v[76:77], v[76:77], -v[217:218]
	s_waitcnt vmcnt(6)
	v_add_f64 v[215:216], v[215:216], -v[175:176]
	v_mul_f64 v[175:176], v[243:244], s[20:21]
	s_waitcnt vmcnt(0)
	v_add_f64 v[72:73], v[10:11], v[72:73]
	s_clause 0x1
	buffer_load_dword v10, off, s[60:63], 0 offset:464
	buffer_load_dword v11, off, s[60:63], 0 offset:468
	v_add_f64 v[66:67], v[215:216], v[66:67]
	v_add_f64 v[175:176], v[179:180], v[175:176]
	v_mul_f64 v[179:180], v[239:240], s[20:21]
	v_add_f64 v[66:67], v[74:75], v[66:67]
	v_mul_f64 v[74:75], v[173:174], s[18:19]
	v_add_f64 v[179:180], v[179:180], -v[181:182]
	v_mul_f64 v[181:182], v[243:244], s[10:11]
	v_add_f64 v[48:49], v[175:176], v[48:49]
	v_add_f64 v[66:67], v[76:77], v[66:67]
	;; [unrolled: 1-line block ×3, first 2 shown]
	v_mul_f64 v[114:115], v[173:174], s[0:1]
	v_add_f64 v[181:182], v[183:184], v[181:182]
	v_mul_f64 v[183:184], v[239:240], s[10:11]
	v_add_f64 v[50:51], v[179:180], v[50:51]
	v_add_f64 v[48:49], v[72:73], v[48:49]
	v_mul_f64 v[72:73], v[169:170], s[18:19]
	v_add_f64 v[52:53], v[181:182], v[52:53]
	v_add_f64 v[183:184], v[183:184], -v[191:192]
	v_mul_f64 v[191:192], v[243:244], s[0:1]
	v_add_f64 v[72:73], v[72:73], -v[22:23]
	v_add_f64 v[54:55], v[183:184], v[54:55]
	v_add_f64 v[191:192], v[205:206], v[191:192]
	v_add_f64 v[56:57], v[191:192], v[56:57]
	s_waitcnt vmcnt(0)
	v_add_f64 v[84:85], v[84:85], -v[10:11]
	s_clause 0x1
	buffer_load_dword v10, off, s[60:63], 0 offset:456
	buffer_load_dword v11, off, s[60:63], 0 offset:460
	v_add_f64 v[80:81], v[84:85], v[50:51]
	v_add_f64 v[84:85], v[38:39], v[46:47]
	;; [unrolled: 1-line block ×3, first 2 shown]
	s_waitcnt vmcnt(0)
	v_add_f64 v[86:87], v[10:11], v[86:87]
	s_clause 0x1
	buffer_load_dword v10, off, s[60:63], 0 offset:448
	buffer_load_dword v11, off, s[60:63], 0 offset:452
	v_add_f64 v[52:53], v[86:87], v[52:53]
	v_mul_f64 v[86:87], v[173:174], s[10:11]
	v_add_f64 v[44:45], v[78:79], v[52:53]
	v_add_f64 v[86:87], v[6:7], v[86:87]
	s_waitcnt vmcnt(0)
	v_add_f64 v[104:105], v[104:105], -v[10:11]
	s_clause 0x9
	buffer_load_dword v10, off, s[60:63], 0 offset:440
	buffer_load_dword v11, off, s[60:63], 0 offset:444
	buffer_load_dword v120, off, s[60:63], 0
	buffer_load_dword v121, off, s[60:63], 0 offset:4
	buffer_load_dword v122, off, s[60:63], 0 offset:8
	;; [unrolled: 1-line block ×7, first 2 shown]
	v_add_f64 v[76:77], v[104:105], v[54:55]
	s_waitcnt vmcnt(8)
	v_add_f64 v[106:107], v[10:11], v[106:107]
	s_clause 0x1
	buffer_load_dword v10, off, s[60:63], 0 offset:504
	buffer_load_dword v11, off, s[60:63], 0 offset:508
	v_add_f64 v[56:57], v[106:107], v[56:57]
	v_mul_f64 v[106:107], v[169:170], s[10:11]
	v_add_f64 v[106:107], v[106:107], -v[4:5]
	v_add_f64 v[46:47], v[106:107], v[70:71]
	s_waitcnt vmcnt(0)
	v_add_f64 v[114:115], v[10:11], v[114:115]
	s_clause 0x1
	buffer_load_dword v10, off, s[60:63], 0 offset:496
	buffer_load_dword v11, off, s[60:63], 0 offset:500
	v_add_f64 v[52:53], v[114:115], v[60:61]
	v_add_f64 v[60:61], v[14:15], v[26:27]
	v_mov_b32_e32 v12, v34
	v_mov_b32_e32 v13, v35
	v_mov_b32_e32 v14, v36
	v_mov_b32_e32 v15, v37
	s_waitcnt vmcnt(0)
	v_add_f64 v[110:111], v[110:111], -v[10:11]
	s_clause 0x1
	buffer_load_dword v10, off, s[60:63], 0 offset:488
	buffer_load_dword v11, off, s[60:63], 0 offset:492
	v_add_f64 v[50:51], v[110:111], v[62:63]
	s_waitcnt vmcnt(0)
	v_add_f64 v[116:117], v[10:11], v[116:117]
	s_clause 0x3
	buffer_load_dword v10, off, s[60:63], 0 offset:480
	buffer_load_dword v11, off, s[60:63], 0 offset:484
	;; [unrolled: 1-line block ×4, first 2 shown]
	s_waitcnt vmcnt(2)
	v_add_f64 v[112:113], v[118:119], -v[10:11]
	s_waitcnt vmcnt(0)
	v_add_f64 v[104:105], v[0:1], v[42:43]
	s_clause 0x3
	buffer_load_dword v0, off, s[60:63], 0 offset:512
	buffer_load_dword v1, off, s[60:63], 0 offset:516
	;; [unrolled: 1-line block ×4, first 2 shown]
	v_add_f64 v[42:43], v[82:83], v[76:77]
	v_add_f64 v[54:55], v[112:113], v[66:67]
	s_waitcnt vmcnt(2)
	v_add_f64 v[24:25], v[0:1], v[40:41]
	v_mov_b32_e32 v0, v28
	v_mov_b32_e32 v1, v29
	;; [unrolled: 1-line block ×4, first 2 shown]
	s_waitcnt vmcnt(0)
	v_add_f64 v[30:31], v[4:5], v[84:85]
	s_clause 0x2
	buffer_load_dword v4, off, s[60:63], 0 offset:144
	buffer_load_dword v5, off, s[60:63], 0 offset:148
	;; [unrolled: 1-line block ×3, first 2 shown]
	v_add_f64 v[40:41], v[74:75], v[48:49]
	v_add_f64 v[48:49], v[86:87], v[56:57]
	;; [unrolled: 1-line block ×3, first 2 shown]
	s_waitcnt vmcnt(1)
	v_add_f64 v[22:23], v[4:5], v[104:105]
	s_waitcnt vmcnt(0)
	v_and_b32_e32 v20, 0xffff, v20
	v_add_lshl_u32 v20, v235, v20, 4
	ds_write_b128 v20, v[58:61]
	ds_write_b128 v20, v[54:57] offset:16
	ds_write_b128 v20, v[50:53] offset:32
	;; [unrolled: 1-line block ×16, first 2 shown]
.LBB0_7:
	s_or_b32 exec_lo, exec_lo, s24
	v_add_lshl_u32 v255, v235, v238, 4
	s_waitcnt lgkmcnt(0)
	s_waitcnt_vscnt null, 0x0
	s_barrier
	buffer_gl0_inv
	s_load_dwordx2 s[8:9], s[4:5], 0x8
	ds_read_b128 v[32:35], v255
	ds_read_b128 v[36:39], v255 offset:1088
	ds_read_b128 v[76:79], v255 offset:2720
	;; [unrolled: 1-line block ×7, first 2 shown]
	v_cmp_gt_u16_e64 s0, 34, v238
	s_and_saveexec_b32 s1, s0
	s_cbranch_execz .LBB0_9
; %bb.8:
	ds_read_b128 v[96:99], v255 offset:2176
	ds_read_b128 v[100:103], v255 offset:4896
	ds_read_b128 v[92:95], v255 offset:7616
	ds_read_b128 v[88:91], v255 offset:10336
.LBB0_9:
	s_or_b32 exec_lo, exec_lo, s1
	v_and_b32_e32 v20, 0xff, v238
	v_add_nc_u16 v21, v238, 0x44
	v_add_nc_u16 v23, v238, 0x88
	v_mul_lo_u16 v20, 0xf1, v20
	v_and_b32_e32 v22, 0xff, v21
	v_lshrrev_b16 v138, 12, v20
	v_mul_lo_u16 v20, 0xf1, v22
	v_and_b32_e32 v22, 0xff, v23
	v_mul_lo_u16 v24, v138, 17
	v_lshrrev_b16 v139, 12, v20
	v_mul_lo_u16 v20, 0xf1, v22
	v_sub_nc_u16 v22, v238, v24
	v_mul_lo_u16 v24, v139, 17
	v_lshrrev_b16 v20, 12, v20
	v_and_b32_e32 v140, 0xff, v22
	v_sub_nc_u16 v22, v21, v24
	v_mul_lo_u16 v24, v20, 17
	buffer_store_dword v20, off, s[60:63], 0 offset:36 ; 4-byte Folded Spill
	s_waitcnt lgkmcnt(0)
	v_mad_u64_u32 v[20:21], null, v140, 48, s[8:9]
	v_and_b32_e32 v141, 0xff, v22
	v_sub_nc_u16 v24, v23, v24
	s_clause 0x1
	global_load_dwordx4 v[60:63], v[20:21], off
	global_load_dwordx4 v[56:59], v[20:21], off offset:16
	v_mad_u64_u32 v[22:23], null, v141, 48, s[8:9]
	v_and_b32_e32 v24, 0xff, v24
	s_clause 0x2
	global_load_dwordx4 v[52:55], v[20:21], off offset:32
	global_load_dwordx4 v[48:51], v[22:23], off
	global_load_dwordx4 v[44:47], v[22:23], off offset:16
	v_mad_u64_u32 v[20:21], null, v24, 48, s[8:9]
	buffer_store_dword v24, off, s[60:63], 0 offset:56 ; 4-byte Folded Spill
	s_clause 0x3
	global_load_dwordx4 v[40:43], v[22:23], off offset:32
	global_load_dwordx4 v[28:31], v[20:21], off
	global_load_dwordx4 v[24:27], v[20:21], off offset:16
	global_load_dwordx4 v[20:23], v[20:21], off offset:32
	s_load_dwordx4 s[4:7], s[2:3], 0x0
	s_waitcnt vmcnt(0) lgkmcnt(0)
	s_waitcnt_vscnt null, 0x0
	s_barrier
	buffer_gl0_inv
	v_mul_f64 v[104:105], v[78:79], v[62:63]
	v_mul_f64 v[108:109], v[82:83], v[58:59]
	;; [unrolled: 1-line block ×17, first 2 shown]
	v_fma_f64 v[76:77], v[76:77], v[60:61], -v[104:105]
	v_fma_f64 v[80:81], v[80:81], v[56:57], -v[108:109]
	v_fma_f64 v[78:79], v[78:79], v[60:61], v[106:107]
	v_fma_f64 v[82:83], v[82:83], v[56:57], v[110:111]
	v_fma_f64 v[84:85], v[84:85], v[52:53], -v[112:113]
	v_fma_f64 v[104:105], v[64:65], v[48:49], -v[116:117]
	;; [unrolled: 1-line block ×3, first 2 shown]
	v_fma_f64 v[86:87], v[86:87], v[52:53], v[114:115]
	v_fma_f64 v[106:107], v[66:67], v[48:49], v[118:119]
	;; [unrolled: 1-line block ×3, first 2 shown]
	v_fma_f64 v[68:69], v[72:73], v[40:41], -v[124:125]
	v_mul_f64 v[72:73], v[88:89], v[22:23]
	v_fma_f64 v[70:71], v[74:75], v[40:41], v[126:127]
	v_fma_f64 v[100:101], v[100:101], v[28:29], -v[128:129]
	v_fma_f64 v[102:103], v[102:103], v[28:29], v[130:131]
	v_fma_f64 v[74:75], v[92:93], v[24:25], -v[132:133]
	;; [unrolled: 2-line block ×3, first 2 shown]
	v_add_f64 v[108:109], v[32:33], -v[80:81]
	v_add_f64 v[110:111], v[34:35], -v[82:83]
	;; [unrolled: 1-line block ×7, first 2 shown]
	v_fma_f64 v[68:69], v[90:91], v[20:21], v[72:73]
	v_add_f64 v[86:87], v[106:107], -v[70:71]
	v_add_f64 v[64:65], v[96:97], -v[74:75]
	;; [unrolled: 1-line block ×4, first 2 shown]
	v_fma_f64 v[116:117], v[32:33], 2.0, -v[108:109]
	v_fma_f64 v[118:119], v[34:35], 2.0, -v[110:111]
	;; [unrolled: 1-line block ×3, first 2 shown]
	v_add_f64 v[70:71], v[110:111], v[80:81]
	v_fma_f64 v[120:121], v[36:37], 2.0, -v[112:113]
	v_fma_f64 v[78:79], v[78:79], 2.0, -v[82:83]
	v_mov_b32_e32 v36, 0x44
	v_fma_f64 v[37:38], v[38:39], 2.0, -v[114:115]
	v_fma_f64 v[90:91], v[104:105], 2.0, -v[84:85]
	v_add_f64 v[94:95], v[102:103], -v[68:69]
	v_fma_f64 v[92:93], v[106:107], 2.0, -v[86:87]
	v_add_f64 v[68:69], v[108:109], -v[82:83]
	v_add_f64 v[72:73], v[112:113], -v[86:87]
	v_fma_f64 v[32:33], v[96:97], 2.0, -v[64:65]
	v_fma_f64 v[34:35], v[98:99], 2.0, -v[66:67]
	;; [unrolled: 1-line block ×3, first 2 shown]
	v_add_f64 v[74:75], v[114:115], v[84:85]
	v_mul_u32_u24_sdwa v39, v138, v36 dst_sel:DWORD dst_unused:UNUSED_PAD src0_sel:WORD_0 src1_sel:DWORD
	v_add_f64 v[76:77], v[116:117], -v[76:77]
	v_fma_f64 v[86:87], v[110:111], 2.0, -v[70:71]
	v_add_f64 v[78:79], v[118:119], -v[78:79]
	v_add_f64 v[80:81], v[120:121], -v[90:91]
	v_fma_f64 v[98:99], v[102:103], 2.0, -v[94:95]
	v_add_f64 v[82:83], v[37:38], -v[92:93]
	v_add_f64 v[92:93], v[64:65], -v[94:95]
	v_add_f64 v[94:95], v[66:67], v[88:89]
	v_fma_f64 v[84:85], v[108:109], 2.0, -v[68:69]
	v_fma_f64 v[88:89], v[112:113], 2.0, -v[72:73]
	v_add_f64 v[96:97], v[32:33], -v[96:97]
	v_fma_f64 v[90:91], v[114:115], 2.0, -v[74:75]
	v_fma_f64 v[100:101], v[116:117], 2.0, -v[76:77]
	;; [unrolled: 1-line block ×4, first 2 shown]
	v_add_f64 v[98:99], v[34:35], -v[98:99]
	v_fma_f64 v[106:107], v[37:38], 2.0, -v[82:83]
	v_mul_u32_u24_sdwa v37, v139, v36 dst_sel:DWORD dst_unused:UNUSED_PAD src0_sel:WORD_0 src1_sel:DWORD
	v_add_nc_u32_e32 v38, v39, v140
	v_add_nc_u32_e32 v37, v37, v141
	v_add_lshl_u32 v253, v235, v38, 4
	v_add_lshl_u32 v250, v235, v37, 4
	ds_write_b128 v253, v[68:71] offset:816
	ds_write_b128 v253, v[84:87] offset:272
	ds_write_b128 v253, v[76:79] offset:544
	ds_write_b128 v253, v[100:103]
	ds_write_b128 v250, v[88:91] offset:272
	ds_write_b128 v250, v[80:83] offset:544
	ds_write_b128 v250, v[104:107]
	ds_write_b128 v250, v[72:75] offset:816
	s_and_saveexec_b32 s1, s0
	s_cbranch_execz .LBB0_11
; %bb.10:
	buffer_load_dword v37, off, s[60:63], 0 offset:36 ; 4-byte Folded Reload
	v_fma_f64 v[34:35], v[34:35], 2.0, -v[98:99]
	v_fma_f64 v[32:33], v[32:33], 2.0, -v[96:97]
	v_fma_f64 v[66:67], v[66:67], 2.0, -v[94:95]
	v_fma_f64 v[64:65], v[64:65], 2.0, -v[92:93]
	s_waitcnt vmcnt(0)
	v_mul_u32_u24_sdwa v36, v37, v36 dst_sel:DWORD dst_unused:UNUSED_PAD src0_sel:WORD_0 src1_sel:DWORD
	buffer_load_dword v37, off, s[60:63], 0 offset:56 ; 4-byte Folded Reload
	s_waitcnt vmcnt(0)
	v_add_nc_u32_e32 v36, v36, v37
	v_add_lshl_u32 v36, v235, v36, 4
	ds_write_b128 v36, v[96:99] offset:544
	ds_write_b128 v36, v[32:35]
	ds_write_b128 v36, v[64:67] offset:272
	ds_write_b128 v36, v[92:95] offset:816
.LBB0_11:
	s_or_b32 exec_lo, exec_lo, s1
	v_mad_u64_u32 v[76:77], null, 0x90, v238, s[8:9]
	s_waitcnt lgkmcnt(0)
	s_barrier
	buffer_gl0_inv
	s_mov_b32 s2, 0x134454ff
	s_mov_b32 s3, 0x3fee6f0e
	;; [unrolled: 1-line block ×3, first 2 shown]
	s_clause 0x8
	global_load_dwordx4 v[36:39], v[76:77], off offset:848
	global_load_dwordx4 v[68:71], v[76:77], off offset:880
	;; [unrolled: 1-line block ×9, first 2 shown]
	ds_read_b128 v[100:103], v255 offset:3264
	ds_read_b128 v[104:107], v255 offset:5440
	;; [unrolled: 1-line block ×9, first 2 shown]
	s_mov_b32 s16, s2
	s_mov_b32 s8, 0x4755a5e
	;; [unrolled: 1-line block ×9, first 2 shown]
	v_mov_b32_e32 v254, v238
	s_waitcnt vmcnt(8) lgkmcnt(8)
	v_mul_f64 v[136:137], v[102:103], v[38:39]
	s_waitcnt vmcnt(7) lgkmcnt(7)
	v_mul_f64 v[142:143], v[104:105], v[70:71]
	;; [unrolled: 2-line block ×4, first 2 shown]
	v_mul_f64 v[138:139], v[100:101], v[38:39]
	v_mul_f64 v[140:141], v[106:107], v[70:71]
	;; [unrolled: 1-line block ×4, first 2 shown]
	s_waitcnt vmcnt(4) lgkmcnt(4)
	v_mul_f64 v[152:153], v[118:119], v[34:35]
	v_mul_f64 v[154:155], v[116:117], v[34:35]
	s_waitcnt vmcnt(3) lgkmcnt(3)
	v_mul_f64 v[157:158], v[122:123], v[90:91]
	v_mul_f64 v[159:160], v[120:121], v[90:91]
	;; [unrolled: 3-line block ×4, first 2 shown]
	s_waitcnt vmcnt(0) lgkmcnt(0)
	v_mul_f64 v[169:170], v[132:133], v[78:79]
	v_fma_f64 v[136:137], v[100:101], v[36:37], -v[136:137]
	v_fma_f64 v[106:107], v[106:107], v[68:69], v[142:143]
	v_fma_f64 v[110:111], v[110:111], v[64:65], v[146:147]
	v_fma_f64 v[112:113], v[112:113], v[72:73], -v[150:151]
	v_fma_f64 v[138:139], v[102:103], v[36:37], v[138:139]
	v_fma_f64 v[104:105], v[104:105], v[68:69], -v[140:141]
	v_fma_f64 v[108:109], v[108:109], v[64:65], -v[144:145]
	v_fma_f64 v[114:115], v[114:115], v[72:73], v[148:149]
	v_mul_f64 v[140:141], v[134:135], v[78:79]
	v_fma_f64 v[116:117], v[116:117], v[32:33], -v[152:153]
	v_fma_f64 v[118:119], v[118:119], v[32:33], v[154:155]
	v_fma_f64 v[120:121], v[120:121], v[88:89], -v[157:158]
	v_fma_f64 v[122:123], v[122:123], v[88:89], v[159:160]
	;; [unrolled: 2-line block ×4, first 2 shown]
	v_fma_f64 v[134:135], v[134:135], v[76:77], v[169:170]
	ds_read_b128 v[100:103], v255
	v_add_f64 v[144:145], v[106:107], v[110:111]
	v_add_f64 v[148:149], v[136:137], v[112:113]
	v_add_f64 v[159:160], v[106:107], -v[110:111]
	v_add_f64 v[161:162], v[136:137], -v[112:113]
	v_add_f64 v[142:143], v[104:105], v[108:109]
	v_add_f64 v[146:147], v[138:139], v[114:115]
	v_fma_f64 v[132:133], v[132:133], v[76:77], -v[140:141]
	v_add_f64 v[157:158], v[138:139], -v[114:115]
	v_add_f64 v[163:164], v[104:105], -v[108:109]
	;; [unrolled: 1-line block ×6, first 2 shown]
	v_add_f64 v[150:151], v[124:125], v[128:129]
	v_add_f64 v[177:178], v[126:127], v[130:131]
	;; [unrolled: 1-line block ×3, first 2 shown]
	v_add_f64 v[191:192], v[138:139], -v[106:107]
	v_add_f64 v[193:194], v[114:115], -v[110:111]
	s_waitcnt lgkmcnt(0)
	v_add_f64 v[140:141], v[100:101], v[120:121]
	v_add_f64 v[152:153], v[122:123], -v[134:135]
	v_add_f64 v[154:155], v[126:127], -v[130:131]
	;; [unrolled: 1-line block ×3, first 2 shown]
	v_fma_f64 v[144:145], v[144:145], -0.5, v[118:119]
	v_fma_f64 v[148:149], v[148:149], -0.5, v[116:117]
	v_add_f64 v[171:172], v[124:125], -v[120:121]
	v_add_f64 v[175:176], v[102:103], v[122:123]
	v_fma_f64 v[142:143], v[142:143], -0.5, v[116:117]
	v_fma_f64 v[146:147], v[146:147], -0.5, v[118:119]
	v_add_f64 v[169:170], v[120:121], v[132:133]
	v_add_f64 v[167:168], v[132:133], -v[128:129]
	v_add_f64 v[120:121], v[120:121], -v[132:133]
	;; [unrolled: 1-line block ×5, first 2 shown]
	v_add_f64 v[116:117], v[116:117], v[136:137]
	v_add_f64 v[118:119], v[118:119], v[138:139]
	v_fma_f64 v[136:137], v[150:151], -0.5, v[100:101]
	v_fma_f64 v[138:139], v[177:178], -0.5, v[102:103]
	;; [unrolled: 1-line block ×3, first 2 shown]
	v_add_f64 v[150:151], v[183:184], v[185:186]
	v_add_f64 v[177:178], v[191:192], v[193:194]
	v_add_f64 v[173:174], v[128:129], -v[132:133]
	v_add_f64 v[207:208], v[122:123], -v[126:127]
	;; [unrolled: 1-line block ×3, first 2 shown]
	v_fma_f64 v[199:200], v[161:162], s[16:17], v[144:145]
	v_fma_f64 v[203:204], v[159:160], s[2:3], v[148:149]
	;; [unrolled: 1-line block ×8, first 2 shown]
	v_fma_f64 v[100:101], v[169:170], -0.5, v[100:101]
	v_add_f64 v[169:170], v[187:188], v[189:190]
	v_add_f64 v[124:125], v[140:141], v[124:125]
	v_add_f64 v[181:182], v[195:196], v[197:198]
	v_add_f64 v[140:141], v[165:166], v[167:168]
	v_add_f64 v[126:127], v[175:176], v[126:127]
	v_add_f64 v[104:105], v[116:117], v[104:105]
	v_add_f64 v[106:107], v[118:119], v[106:107]
	v_fma_f64 v[116:117], v[152:153], s[2:3], v[136:137]
	v_fma_f64 v[118:119], v[152:153], s[16:17], v[136:137]
	v_add_f64 v[209:210], v[134:135], -v[130:131]
	v_add_f64 v[211:212], v[130:131], -v[134:135]
	v_fma_f64 v[183:184], v[163:164], s[18:19], v[199:200]
	v_fma_f64 v[187:188], v[157:158], s[18:19], v[203:204]
	;; [unrolled: 1-line block ×14, first 2 shown]
	v_add_f64 v[157:158], v[171:172], v[173:174]
	v_add_f64 v[124:125], v[124:125], v[128:129]
	;; [unrolled: 1-line block ×5, first 2 shown]
	v_fma_f64 v[108:109], v[154:155], s[8:9], v[116:117]
	v_fma_f64 v[110:111], v[154:155], s[18:19], v[118:119]
	v_add_f64 v[122:123], v[122:123], v[211:212]
	v_fma_f64 v[163:164], v[177:178], s[10:11], v[183:184]
	v_fma_f64 v[167:168], v[169:170], s[10:11], v[187:188]
	;; [unrolled: 1-line block ×8, first 2 shown]
	v_add_f64 v[150:151], v[207:208], v[209:210]
	v_fma_f64 v[100:101], v[152:153], s[18:19], v[100:101]
	v_fma_f64 v[116:117], v[152:153], s[8:9], v[136:137]
	;; [unrolled: 1-line block ×6, first 2 shown]
	v_add_f64 v[124:125], v[124:125], v[132:133]
	v_add_f64 v[126:127], v[126:127], v[134:135]
	;; [unrolled: 1-line block ×4, first 2 shown]
	v_fma_f64 v[108:109], v[140:141], s[10:11], v[108:109]
	v_fma_f64 v[110:111], v[140:141], s[10:11], v[110:111]
	v_mul_f64 v[120:121], v[163:164], s[8:9]
	v_mul_f64 v[138:139], v[167:168], s[10:11]
	;; [unrolled: 1-line block ×8, first 2 shown]
	v_fma_f64 v[140:141], v[157:158], s[10:11], v[100:101]
	v_fma_f64 v[116:117], v[157:158], s[10:11], v[116:117]
	;; [unrolled: 1-line block ×6, first 2 shown]
	v_add_f64 v[100:101], v[124:125], v[104:105]
	v_add_f64 v[102:103], v[126:127], v[106:107]
	v_add_f64 v[112:113], v[124:125], -v[104:105]
	v_add_f64 v[114:115], v[126:127], -v[106:107]
	v_fma_f64 v[120:121], v[142:143], s[20:21], v[120:121]
	v_fma_f64 v[142:143], v[146:147], s[2:3], -v[138:139]
	v_fma_f64 v[144:145], v[144:145], s[8:9], -v[152:153]
	v_fma_f64 v[122:123], v[148:149], s[10:11], v[136:137]
	v_fma_f64 v[146:147], v[163:164], s[20:21], v[154:155]
	;; [unrolled: 1-line block ×3, first 2 shown]
	v_fma_f64 v[152:153], v[167:168], s[16:17], -v[161:162]
	v_fma_f64 v[154:155], v[171:172], s[18:19], -v[169:170]
	v_add_f64 v[136:137], v[108:109], v[120:121]
	v_add_f64 v[128:129], v[140:141], v[142:143]
	v_add_f64 v[120:121], v[108:109], -v[120:121]
	v_add_f64 v[108:109], v[140:141], -v[142:143]
	buffer_load_dword v140, off, s[60:63], 0 offset:32 ; 4-byte Folded Reload
	v_add_f64 v[132:133], v[116:117], v[122:123]
	v_add_f64 v[124:125], v[110:111], v[144:145]
	;; [unrolled: 1-line block ×6, first 2 shown]
	v_add_f64 v[116:117], v[116:117], -v[122:123]
	v_add_f64 v[104:105], v[110:111], -v[144:145]
	;; [unrolled: 1-line block ×6, first 2 shown]
	s_waitcnt vmcnt(0)
	v_lshl_add_u32 v249, v238, 4, v140
	ds_write_b128 v249, v[100:103]
	ds_write_b128 v249, v[112:115] offset:5440
	ds_write_b128 v249, v[136:139] offset:1088
	;; [unrolled: 1-line block ×9, first 2 shown]
	s_waitcnt lgkmcnt(0)
	s_barrier
	buffer_gl0_inv
	s_and_saveexec_b32 s8, vcc_lo
	s_cbranch_execz .LBB0_13
; %bb.12:
	v_lshlrev_b32_e32 v157, 4, v254
	s_add_u32 s2, s12, 0x2a80
	s_addc_u32 s3, s13, 0
	ds_read_b128 v[142:145], v249
	global_load_dwordx4 v[146:149], v157, s[2:3]
	v_add_co_u32 v140, s1, s2, v157
	v_add_co_ci_u32_e64 v141, null, s3, 0, s1
	v_add_co_u32 v154, s1, 0x800, v140
	v_add_co_ci_u32_e64 v155, s1, 0, v141, s1
	s_waitcnt vmcnt(0) lgkmcnt(0)
	v_mul_f64 v[150:151], v[144:145], v[148:149]
	v_fma_f64 v[150:151], v[142:143], v[146:147], -v[150:151]
	v_mul_f64 v[142:143], v[142:143], v[148:149]
	v_fma_f64 v[152:153], v[144:145], v[146:147], v[142:143]
	global_load_dwordx4 v[146:149], v157, s[2:3] offset:640
	ds_read_b128 v[142:145], v249 offset:640
	ds_write_b128 v249, v[150:153]
	s_waitcnt vmcnt(0) lgkmcnt(1)
	v_mul_f64 v[150:151], v[144:145], v[148:149]
	v_fma_f64 v[150:151], v[142:143], v[146:147], -v[150:151]
	v_mul_f64 v[142:143], v[142:143], v[148:149]
	v_fma_f64 v[152:153], v[144:145], v[146:147], v[142:143]
	global_load_dwordx4 v[146:149], v157, s[2:3] offset:1280
	ds_read_b128 v[142:145], v249 offset:1280
	ds_write_b128 v249, v[150:153] offset:640
	s_waitcnt vmcnt(0) lgkmcnt(1)
	v_mul_f64 v[150:151], v[144:145], v[148:149]
	v_fma_f64 v[150:151], v[142:143], v[146:147], -v[150:151]
	v_mul_f64 v[142:143], v[142:143], v[148:149]
	v_fma_f64 v[152:153], v[144:145], v[146:147], v[142:143]
	global_load_dwordx4 v[146:149], v157, s[2:3] offset:1920
	ds_read_b128 v[142:145], v249 offset:1920
	ds_write_b128 v249, v[150:153] offset:1280
	s_waitcnt vmcnt(0) lgkmcnt(1)
	v_mul_f64 v[150:151], v[144:145], v[148:149]
	v_fma_f64 v[150:151], v[142:143], v[146:147], -v[150:151]
	v_mul_f64 v[142:143], v[142:143], v[148:149]
	v_fma_f64 v[152:153], v[144:145], v[146:147], v[142:143]
	global_load_dwordx4 v[146:149], v[154:155], off offset:512
	ds_read_b128 v[142:145], v249 offset:2560
	ds_write_b128 v249, v[150:153] offset:1920
	s_waitcnt vmcnt(0) lgkmcnt(1)
	v_mul_f64 v[150:151], v[144:145], v[148:149]
	v_fma_f64 v[150:151], v[142:143], v[146:147], -v[150:151]
	v_mul_f64 v[142:143], v[142:143], v[148:149]
	v_fma_f64 v[152:153], v[144:145], v[146:147], v[142:143]
	global_load_dwordx4 v[146:149], v[154:155], off offset:1152
	;; [unrolled: 8-line block ×3, first 2 shown]
	ds_read_b128 v[142:145], v249 offset:3840
	v_add_co_u32 v154, s1, 0x1000, v140
	v_add_co_ci_u32_e64 v155, s1, 0, v141, s1
	ds_write_b128 v249, v[150:153] offset:3200
	s_waitcnt vmcnt(0) lgkmcnt(1)
	v_mul_f64 v[150:151], v[144:145], v[148:149]
	v_fma_f64 v[150:151], v[142:143], v[146:147], -v[150:151]
	v_mul_f64 v[142:143], v[142:143], v[148:149]
	v_fma_f64 v[152:153], v[144:145], v[146:147], v[142:143]
	global_load_dwordx4 v[146:149], v[154:155], off offset:384
	ds_read_b128 v[142:145], v249 offset:4480
	ds_write_b128 v249, v[150:153] offset:3840
	s_waitcnt vmcnt(0) lgkmcnt(1)
	v_mul_f64 v[150:151], v[144:145], v[148:149]
	v_fma_f64 v[150:151], v[142:143], v[146:147], -v[150:151]
	v_mul_f64 v[142:143], v[142:143], v[148:149]
	v_fma_f64 v[152:153], v[144:145], v[146:147], v[142:143]
	v_or_b32_e32 v146, 0x1400, v157
	ds_read_b128 v[142:145], v249 offset:5120
	global_load_dwordx4 v[146:149], v146, s[2:3]
	ds_write_b128 v249, v[150:153] offset:4480
	s_waitcnt vmcnt(0) lgkmcnt(1)
	v_mul_f64 v[150:151], v[144:145], v[148:149]
	v_fma_f64 v[150:151], v[142:143], v[146:147], -v[150:151]
	v_mul_f64 v[142:143], v[142:143], v[148:149]
	v_fma_f64 v[152:153], v[144:145], v[146:147], v[142:143]
	global_load_dwordx4 v[146:149], v[154:155], off offset:1664
	ds_read_b128 v[142:145], v249 offset:5760
	v_add_co_u32 v154, s1, 0x1800, v140
	v_add_co_ci_u32_e64 v155, s1, 0, v141, s1
	ds_write_b128 v249, v[150:153] offset:5120
	s_waitcnt vmcnt(0) lgkmcnt(1)
	v_mul_f64 v[150:151], v[144:145], v[148:149]
	v_fma_f64 v[150:151], v[142:143], v[146:147], -v[150:151]
	v_mul_f64 v[142:143], v[142:143], v[148:149]
	v_fma_f64 v[152:153], v[144:145], v[146:147], v[142:143]
	global_load_dwordx4 v[146:149], v[154:155], off offset:256
	ds_read_b128 v[142:145], v249 offset:6400
	ds_write_b128 v249, v[150:153] offset:5760
	s_waitcnt vmcnt(0) lgkmcnt(1)
	v_mul_f64 v[150:151], v[144:145], v[148:149]
	v_fma_f64 v[150:151], v[142:143], v[146:147], -v[150:151]
	v_mul_f64 v[142:143], v[142:143], v[148:149]
	v_fma_f64 v[152:153], v[144:145], v[146:147], v[142:143]
	global_load_dwordx4 v[146:149], v[154:155], off offset:896
	ds_read_b128 v[142:145], v249 offset:7040
	;; [unrolled: 8-line block ×3, first 2 shown]
	ds_write_b128 v249, v[150:153] offset:7040
	s_waitcnt vmcnt(0) lgkmcnt(1)
	v_mul_f64 v[150:151], v[144:145], v[148:149]
	v_fma_f64 v[150:151], v[142:143], v[146:147], -v[150:151]
	v_mul_f64 v[142:143], v[142:143], v[148:149]
	v_fma_f64 v[152:153], v[144:145], v[146:147], v[142:143]
	ds_read_b128 v[142:145], v249 offset:8320
	ds_write_b128 v249, v[150:153] offset:7680
	v_add_co_u32 v152, s1, 0x2000, v140
	v_add_co_ci_u32_e64 v153, s1, 0, v141, s1
	global_load_dwordx4 v[146:149], v[152:153], off offset:128
	s_waitcnt vmcnt(0) lgkmcnt(1)
	v_mul_f64 v[140:141], v[144:145], v[148:149]
	v_fma_f64 v[140:141], v[142:143], v[146:147], -v[140:141]
	v_mul_f64 v[142:143], v[142:143], v[148:149]
	v_fma_f64 v[142:143], v[144:145], v[146:147], v[142:143]
	global_load_dwordx4 v[144:147], v[152:153], off offset:768
	ds_write_b128 v249, v[140:143] offset:8320
	ds_read_b128 v[140:143], v249 offset:8960
	s_waitcnt vmcnt(0) lgkmcnt(0)
	v_mul_f64 v[148:149], v[142:143], v[146:147]
	v_fma_f64 v[148:149], v[140:141], v[144:145], -v[148:149]
	v_mul_f64 v[140:141], v[140:141], v[146:147]
	v_fma_f64 v[150:151], v[142:143], v[144:145], v[140:141]
	global_load_dwordx4 v[144:147], v[152:153], off offset:1408
	ds_read_b128 v[140:143], v249 offset:9600
	ds_write_b128 v249, v[148:151] offset:8960
	s_waitcnt vmcnt(0) lgkmcnt(1)
	v_mul_f64 v[148:149], v[142:143], v[146:147]
	v_fma_f64 v[148:149], v[140:141], v[144:145], -v[148:149]
	v_mul_f64 v[140:141], v[140:141], v[146:147]
	v_fma_f64 v[150:151], v[142:143], v[144:145], v[140:141]
	v_or_b32_e32 v144, 0x2800, v157
	ds_read_b128 v[140:143], v249 offset:10240
	global_load_dwordx4 v[144:147], v144, s[2:3]
	ds_write_b128 v249, v[148:151] offset:9600
	s_waitcnt vmcnt(0) lgkmcnt(1)
	v_mul_f64 v[148:149], v[142:143], v[146:147]
	v_fma_f64 v[148:149], v[140:141], v[144:145], -v[148:149]
	v_mul_f64 v[140:141], v[140:141], v[146:147]
	v_fma_f64 v[150:151], v[142:143], v[144:145], v[140:141]
	ds_write_b128 v249, v[148:151] offset:10240
.LBB0_13:
	s_or_b32 exec_lo, exec_lo, s8
	s_waitcnt lgkmcnt(0)
	s_barrier
	buffer_gl0_inv
	s_and_saveexec_b32 s1, vcc_lo
	s_cbranch_execz .LBB0_15
; %bb.14:
	ds_read_b128 v[100:103], v249
	ds_read_b128 v[136:139], v249 offset:640
	ds_read_b128 v[132:135], v249 offset:1280
	;; [unrolled: 1-line block ×15, first 2 shown]
	s_waitcnt lgkmcnt(0)
	buffer_store_dword v4, off, s[60:63], 0 offset:16 ; 4-byte Folded Spill
	buffer_store_dword v5, off, s[60:63], 0 offset:20 ; 4-byte Folded Spill
	;; [unrolled: 1-line block ×4, first 2 shown]
	ds_read_b128 v[4:7], v249 offset:10240
	s_waitcnt lgkmcnt(0)
	buffer_store_dword v4, off, s[60:63], 0 ; 4-byte Folded Spill
	buffer_store_dword v5, off, s[60:63], 0 offset:4 ; 4-byte Folded Spill
	buffer_store_dword v6, off, s[60:63], 0 offset:8 ; 4-byte Folded Spill
	;; [unrolled: 1-line block ×3, first 2 shown]
.LBB0_15:
	s_or_b32 exec_lo, exec_lo, s1
	s_clause 0x3
	buffer_load_dword v4, off, s[60:63], 0
	buffer_load_dword v5, off, s[60:63], 0 offset:4
	buffer_load_dword v6, off, s[60:63], 0 offset:8
	buffer_load_dword v7, off, s[60:63], 0 offset:12
	s_mov_b32 s2, 0x910ea3b9
	s_mov_b32 s16, 0x4363dd80
	;; [unrolled: 1-line block ×24, first 2 shown]
	v_add_f64 v[175:176], v[130:131], -v[2:3]
	s_mov_b32 s39, 0xbfd71e95
	s_mov_b32 s38, s26
	;; [unrolled: 1-line block ×6, first 2 shown]
	v_add_f64 v[199:200], v[126:127], -v[14:15]
	s_mov_b32 s45, 0x3fe0d888
	s_mov_b32 s44, s16
	;; [unrolled: 1-line block ×7, first 2 shown]
	v_add_f64 v[211:212], v[114:115], -v[18:19]
	s_mov_b32 s51, 0xbfe58eea
	s_mov_b32 s50, s48
	;; [unrolled: 1-line block ×4, first 2 shown]
	v_add_f64 v[207:208], v[18:19], v[114:115]
	v_add_f64 v[205:206], v[16:17], v[112:113]
	v_mul_f64 v[181:182], v[175:176], s[38:39]
	v_add_f64 v[209:210], v[112:113], -v[16:17]
	v_add_f64 v[231:232], v[122:123], -v[94:95]
	v_add_f64 v[215:216], v[92:93], v[120:121]
	v_add_f64 v[219:220], v[94:95], v[122:123]
	v_add_f64 v[221:222], v[120:121], -v[92:93]
	v_add_f64 v[243:244], v[118:119], -v[98:99]
	v_mul_f64 v[187:188], v[199:200], s[16:17]
	s_mov_b32 s57, 0xbfeca52d
	s_mov_b32 s56, s30
	v_add_f64 v[227:228], v[116:117], v[96:97]
	v_add_f64 v[229:230], v[118:119], v[98:99]
	v_add_f64 v[233:234], v[116:117], -v[96:97]
	s_mov_b32 s59, 0xbfeec746
	s_mov_b32 s58, s34
	v_add_f64 v[251:252], v[110:111], -v[106:107]
	v_add_f64 v[239:240], v[110:111], v[106:107]
	v_add_f64 v[245:246], v[108:109], -v[104:105]
	v_mul_f64 v[201:202], v[219:220], s[8:9]
	v_mul_f64 v[223:224], v[229:230], s[46:47]
	;; [unrolled: 1-line block ×4, first 2 shown]
	s_waitcnt vmcnt(0)
	v_add_f64 v[173:174], v[6:7], v[138:139]
	v_add_f64 v[179:180], v[138:139], -v[6:7]
	v_add_f64 v[171:172], v[4:5], v[136:137]
	v_add_f64 v[177:178], v[136:137], -v[4:5]
	v_mul_f64 v[146:147], v[173:174], s[2:3]
	v_mul_f64 v[144:145], v[179:180], s[16:17]
	;; [unrolled: 1-line block ×6, first 2 shown]
	buffer_store_dword v144, off, s[60:63], 0 offset:72 ; 4-byte Folded Spill
	buffer_store_dword v145, off, s[60:63], 0 offset:76 ; 4-byte Folded Spill
	;; [unrolled: 1-line block ×4, first 2 shown]
	s_clause 0x3
	buffer_load_dword v8, off, s[60:63], 0 offset:16
	buffer_load_dword v9, off, s[60:63], 0 offset:20
	;; [unrolled: 1-line block ×4, first 2 shown]
	v_fma_f64 v[140:141], v[171:172], s[10:11], -v[4:5]
	v_fma_f64 v[142:143], v[177:178], s[20:21], v[6:7]
	v_fma_f64 v[150:151], v[171:172], s[8:9], v[148:149]
	v_fma_f64 v[148:149], v[171:172], s[8:9], -v[148:149]
	v_fma_f64 v[154:155], v[177:178], s[36:37], v[152:153]
	v_fma_f64 v[152:153], v[177:178], s[18:19], v[152:153]
	v_add_f64 v[140:141], v[100:101], v[140:141]
	v_add_f64 v[142:143], v[102:103], v[142:143]
	;; [unrolled: 1-line block ×6, first 2 shown]
	v_fma_f64 v[144:145], v[171:172], s[2:3], -v[144:145]
	v_fma_f64 v[146:147], v[177:178], s[16:17], v[146:147]
	s_waitcnt vmcnt(0)
	v_add_f64 v[163:164], v[134:135], -v[10:11]
	v_add_f64 v[159:160], v[10:11], v[134:135]
	v_add_f64 v[157:158], v[8:9], v[132:133]
	v_add_f64 v[161:162], v[132:133], -v[8:9]
	v_mul_f64 v[8:9], v[199:200], s[52:53]
	v_add_f64 v[144:145], v[100:101], v[144:145]
	v_add_f64 v[146:147], v[102:103], v[146:147]
	v_mul_f64 v[165:166], v[163:164], s[34:35]
	v_mul_f64 v[167:168], v[159:160], s[28:29]
	buffer_store_dword v165, off, s[60:63], 0 offset:88 ; 4-byte Folded Spill
	buffer_store_dword v166, off, s[60:63], 0 offset:92 ; 4-byte Folded Spill
	;; [unrolled: 1-line block ×4, first 2 shown]
	v_fma_f64 v[165:166], v[157:158], s[28:29], -v[165:166]
	v_add_f64 v[140:141], v[165:166], v[140:141]
	v_fma_f64 v[165:166], v[161:162], s[34:35], v[167:168]
	v_mul_f64 v[167:168], v[159:160], s[24:25]
	v_add_f64 v[142:143], v[165:166], v[142:143]
	v_mul_f64 v[165:166], v[163:164], s[30:31]
	buffer_store_dword v165, off, s[60:63], 0 offset:104 ; 4-byte Folded Spill
	buffer_store_dword v166, off, s[60:63], 0 offset:108 ; 4-byte Folded Spill
	;; [unrolled: 1-line block ×6, first 2 shown]
	v_fma_f64 v[165:166], v[157:158], s[24:25], -v[165:166]
	v_add_f64 v[144:145], v[165:166], v[144:145]
	v_fma_f64 v[165:166], v[161:162], s[30:31], v[167:168]
	v_add_f64 v[146:147], v[165:166], v[146:147]
	v_mul_f64 v[165:166], v[163:164], s[26:27]
	v_fma_f64 v[167:168], v[157:158], s[22:23], v[165:166]
	v_fma_f64 v[165:166], v[157:158], s[22:23], -v[165:166]
	v_add_f64 v[150:151], v[167:168], v[150:151]
	v_mul_f64 v[167:168], v[159:160], s[22:23]
	v_add_f64 v[148:149], v[165:166], v[148:149]
	v_fma_f64 v[169:170], v[161:162], s[38:39], v[167:168]
	v_fma_f64 v[165:166], v[161:162], s[26:27], v[167:168]
	v_add_f64 v[167:168], v[130:131], v[2:3]
	v_add_f64 v[154:155], v[169:170], v[154:155]
	;; [unrolled: 1-line block ×3, first 2 shown]
	v_mul_f64 v[183:184], v[167:168], s[22:23]
	v_add_f64 v[165:166], v[128:129], v[0:1]
	v_add_f64 v[169:170], v[128:129], -v[0:1]
	buffer_store_dword v183, off, s[60:63], 0 offset:128 ; 4-byte Folded Spill
	buffer_store_dword v184, off, s[60:63], 0 offset:132 ; 4-byte Folded Spill
	v_fma_f64 v[181:182], v[165:166], s[22:23], -v[181:182]
	v_add_f64 v[140:141], v[181:182], v[140:141]
	v_fma_f64 v[181:182], v[169:170], s[38:39], v[183:184]
	v_mul_f64 v[183:184], v[167:168], s[40:41]
	v_add_f64 v[142:143], v[181:182], v[142:143]
	v_mul_f64 v[181:182], v[175:176], s[42:43]
	buffer_store_dword v181, off, s[60:63], 0 offset:136 ; 4-byte Folded Spill
	buffer_store_dword v182, off, s[60:63], 0 offset:140 ; 4-byte Folded Spill
	;; [unrolled: 1-line block ×6, first 2 shown]
	v_fma_f64 v[181:182], v[165:166], s[40:41], -v[181:182]
	v_add_f64 v[144:145], v[181:182], v[144:145]
	v_fma_f64 v[181:182], v[169:170], s[42:43], v[183:184]
	v_add_f64 v[146:147], v[181:182], v[146:147]
	v_mul_f64 v[181:182], v[175:176], s[16:17]
	v_fma_f64 v[183:184], v[165:166], s[2:3], v[181:182]
	v_fma_f64 v[181:182], v[165:166], s[2:3], -v[181:182]
	v_add_f64 v[150:151], v[183:184], v[150:151]
	v_mul_f64 v[183:184], v[167:168], s[2:3]
	v_add_f64 v[148:149], v[181:182], v[148:149]
	v_fma_f64 v[185:186], v[169:170], s[44:45], v[183:184]
	v_fma_f64 v[181:182], v[169:170], s[16:17], v[183:184]
	v_add_f64 v[183:184], v[126:127], v[14:15]
	v_add_f64 v[154:155], v[185:186], v[154:155]
	;; [unrolled: 1-line block ×3, first 2 shown]
	v_mul_f64 v[189:190], v[183:184], s[2:3]
	v_add_f64 v[181:182], v[124:125], v[12:13]
	v_add_f64 v[185:186], v[124:125], -v[12:13]
	v_mul_f64 v[10:11], v[183:184], s[10:11]
	buffer_store_dword v189, off, s[60:63], 0 offset:160 ; 4-byte Folded Spill
	buffer_store_dword v190, off, s[60:63], 0 offset:164 ; 4-byte Folded Spill
	v_fma_f64 v[187:188], v[181:182], s[2:3], -v[187:188]
	v_add_f64 v[140:141], v[187:188], v[140:141]
	v_fma_f64 v[187:188], v[185:186], s[16:17], v[189:190]
	v_add_f64 v[142:143], v[187:188], v[142:143]
	v_fma_f64 v[187:188], v[181:182], s[10:11], -v[8:9]
	v_add_f64 v[144:145], v[187:188], v[144:145]
	v_fma_f64 v[187:188], v[185:186], s[52:53], v[10:11]
	v_add_f64 v[146:147], v[187:188], v[146:147]
	v_mul_f64 v[187:188], v[199:200], s[48:49]
	v_fma_f64 v[189:190], v[181:182], s[46:47], v[187:188]
	v_fma_f64 v[187:188], v[181:182], s[46:47], -v[187:188]
	v_add_f64 v[150:151], v[189:190], v[150:151]
	v_mul_f64 v[189:190], v[183:184], s[46:47]
	v_add_f64 v[148:149], v[187:188], v[148:149]
	v_fma_f64 v[187:188], v[185:186], s[48:49], v[189:190]
	v_fma_f64 v[191:192], v[185:186], s[50:51], v[189:190]
	v_add_f64 v[152:153], v[187:188], v[152:153]
	v_mul_f64 v[187:188], v[211:212], s[54:55]
	v_add_f64 v[154:155], v[191:192], v[154:155]
	v_mul_f64 v[191:192], v[207:208], s[40:41]
	buffer_store_dword v187, off, s[60:63], 0 offset:168 ; 4-byte Folded Spill
	buffer_store_dword v188, off, s[60:63], 0 offset:172 ; 4-byte Folded Spill
	;; [unrolled: 1-line block ×4, first 2 shown]
	v_fma_f64 v[189:190], v[205:206], s[40:41], -v[187:188]
	v_mul_f64 v[187:188], v[211:212], s[38:39]
	buffer_store_dword v187, off, s[60:63], 0 offset:184 ; 4-byte Folded Spill
	buffer_store_dword v188, off, s[60:63], 0 offset:188 ; 4-byte Folded Spill
	v_add_f64 v[140:141], v[189:190], v[140:141]
	v_fma_f64 v[189:190], v[209:210], s[54:55], v[191:192]
	v_mul_f64 v[191:192], v[239:240], s[40:41]
	v_add_f64 v[142:143], v[189:190], v[142:143]
	v_mul_f64 v[189:190], v[207:208], s[22:23]
	buffer_store_dword v189, off, s[60:63], 0 offset:192 ; 4-byte Folded Spill
	buffer_store_dword v190, off, s[60:63], 0 offset:196 ; 4-byte Folded Spill
	s_waitcnt_vscnt null, 0x0
	s_barrier
	buffer_gl0_inv
	v_fma_f64 v[193:194], v[205:206], s[22:23], -v[187:188]
	v_add_f64 v[144:145], v[193:194], v[144:145]
	v_fma_f64 v[193:194], v[209:210], s[38:39], v[189:190]
	v_add_f64 v[146:147], v[193:194], v[146:147]
	v_mul_f64 v[193:194], v[211:212], s[20:21]
	v_fma_f64 v[195:196], v[205:206], s[10:11], v[193:194]
	v_fma_f64 v[193:194], v[205:206], s[10:11], -v[193:194]
	v_add_f64 v[150:151], v[195:196], v[150:151]
	v_mul_f64 v[195:196], v[207:208], s[10:11]
	v_add_f64 v[148:149], v[193:194], v[148:149]
	v_fma_f64 v[193:194], v[209:210], s[20:21], v[195:196]
	v_fma_f64 v[197:198], v[209:210], s[52:53], v[195:196]
	v_mul_f64 v[195:196], v[219:220], s[46:47]
	v_add_f64 v[152:153], v[193:194], v[152:153]
	v_mul_f64 v[193:194], v[231:232], s[50:51]
	v_add_f64 v[154:155], v[197:198], v[154:155]
	v_fma_f64 v[197:198], v[215:216], s[46:47], -v[193:194]
	v_add_f64 v[140:141], v[197:198], v[140:141]
	v_fma_f64 v[197:198], v[221:222], s[50:51], v[195:196]
	v_add_f64 v[142:143], v[197:198], v[142:143]
	v_mul_f64 v[197:198], v[231:232], s[18:19]
	v_fma_f64 v[203:204], v[215:216], s[8:9], -v[197:198]
	v_add_f64 v[144:145], v[203:204], v[144:145]
	v_fma_f64 v[203:204], v[221:222], s[18:19], v[201:202]
	v_add_f64 v[146:147], v[203:204], v[146:147]
	v_mul_f64 v[203:204], v[231:232], s[30:31]
	v_fma_f64 v[213:214], v[215:216], s[24:25], v[203:204]
	v_fma_f64 v[203:204], v[215:216], s[24:25], -v[203:204]
	v_add_f64 v[150:151], v[213:214], v[150:151]
	v_mul_f64 v[213:214], v[219:220], s[24:25]
	v_add_f64 v[148:149], v[203:204], v[148:149]
	v_fma_f64 v[203:204], v[221:222], s[30:31], v[213:214]
	v_fma_f64 v[217:218], v[221:222], s[56:57], v[213:214]
	v_mul_f64 v[213:214], v[229:230], s[8:9]
	v_add_f64 v[152:153], v[203:204], v[152:153]
	v_mul_f64 v[203:204], v[243:244], s[18:19]
	v_add_f64 v[154:155], v[217:218], v[154:155]
	v_fma_f64 v[217:218], v[227:228], s[8:9], -v[203:204]
	v_add_f64 v[140:141], v[217:218], v[140:141]
	v_fma_f64 v[217:218], v[233:234], s[18:19], v[213:214]
	v_add_f64 v[142:143], v[217:218], v[142:143]
	v_mul_f64 v[217:218], v[243:244], s[48:49]
	v_fma_f64 v[225:226], v[227:228], s[46:47], -v[217:218]
	v_add_f64 v[144:145], v[225:226], v[144:145]
	v_fma_f64 v[225:226], v[233:234], s[48:49], v[223:224]
	v_add_f64 v[146:147], v[225:226], v[146:147]
	v_mul_f64 v[225:226], v[243:244], s[58:59]
	v_fma_f64 v[235:236], v[227:228], s[28:29], v[225:226]
	v_fma_f64 v[225:226], v[227:228], s[28:29], -v[225:226]
	v_add_f64 v[150:151], v[235:236], v[150:151]
	v_mul_f64 v[235:236], v[229:230], s[28:29]
	v_add_f64 v[187:188], v[225:226], v[148:149]
	v_mul_f64 v[225:226], v[251:252], s[30:31]
	v_fma_f64 v[237:238], v[233:234], s[34:35], v[235:236]
	v_fma_f64 v[148:149], v[233:234], s[58:59], v[235:236]
	v_add_f64 v[235:236], v[108:109], v[104:105]
	v_add_f64 v[154:155], v[237:238], v[154:155]
	;; [unrolled: 1-line block ×3, first 2 shown]
	v_mul_f64 v[237:238], v[239:240], s[24:25]
	v_fma_f64 v[148:149], v[235:236], s[24:25], -v[225:226]
	v_mul_f64 v[152:153], v[251:252], s[54:55]
	v_add_f64 v[140:141], v[148:149], v[140:141]
	v_fma_f64 v[148:149], v[245:246], s[30:31], v[237:238]
	v_add_f64 v[142:143], v[148:149], v[142:143]
	v_fma_f64 v[148:149], v[235:236], s[28:29], -v[241:242]
	v_add_f64 v[144:145], v[148:149], v[144:145]
	v_fma_f64 v[148:149], v[245:246], s[58:59], v[247:248]
	v_add_f64 v[146:147], v[148:149], v[146:147]
	v_fma_f64 v[148:149], v[235:236], s[40:41], v[152:153]
	v_fma_f64 v[152:153], v[235:236], s[40:41], -v[152:153]
	v_add_f64 v[148:149], v[148:149], v[150:151]
	v_fma_f64 v[150:151], v[245:246], s[42:43], v[191:192]
	v_add_f64 v[152:153], v[152:153], v[187:188]
	v_add_f64 v[150:151], v[150:151], v[154:155]
	v_fma_f64 v[154:155], v[245:246], s[54:55], v[191:192]
	v_add_f64 v[154:155], v[154:155], v[189:190]
	s_and_saveexec_b32 s1, vcc_lo
	s_cbranch_execz .LBB0_17
; %bb.16:
	v_add_f64 v[138:139], v[102:103], v[138:139]
	v_add_f64 v[136:137], v[100:101], v[136:137]
	v_mul_f64 v[191:192], v[205:206], s[22:23]
	v_mul_f64 v[189:190], v[181:182], s[10:11]
	;; [unrolled: 1-line block ×3, first 2 shown]
	v_add_f64 v[134:135], v[134:135], v[138:139]
	v_add_f64 v[132:133], v[132:133], v[136:137]
	;; [unrolled: 1-line block ×3, first 2 shown]
	v_mul_f64 v[8:9], v[161:162], s[34:35]
	v_add_f64 v[187:188], v[10:11], -v[187:188]
	v_mul_f64 v[10:11], v[157:158], s[28:29]
	v_add_f64 v[130:131], v[130:131], v[134:135]
	v_add_f64 v[128:129], v[128:129], v[132:133]
	v_mul_f64 v[132:133], v[179:180], s[38:39]
	v_add_f64 v[126:127], v[126:127], v[130:131]
	v_add_f64 v[124:125], v[124:125], v[128:129]
	v_mul_f64 v[128:129], v[179:180], s[56:57]
	v_mul_f64 v[130:131], v[179:180], s[50:51]
	v_add_f64 v[114:115], v[114:115], v[126:127]
	v_add_f64 v[112:113], v[112:113], v[124:125]
	v_mul_f64 v[124:125], v[179:180], s[58:59]
	v_mul_f64 v[126:127], v[179:180], s[42:43]
	v_fma_f64 v[138:139], v[171:172], s[24:25], -v[128:129]
	v_fma_f64 v[128:129], v[171:172], s[24:25], v[128:129]
	v_mul_f64 v[179:180], v[165:166], s[40:41]
	v_add_f64 v[114:115], v[122:123], v[114:115]
	v_add_f64 v[112:113], v[120:121], v[112:113]
	v_fma_f64 v[134:135], v[171:172], s[28:29], -v[124:125]
	v_fma_f64 v[124:125], v[171:172], s[28:29], v[124:125]
	v_fma_f64 v[136:137], v[171:172], s[40:41], -v[126:127]
	v_fma_f64 v[126:127], v[171:172], s[40:41], v[126:127]
	v_add_f64 v[138:139], v[100:101], v[138:139]
	v_add_f64 v[128:129], v[100:101], v[128:129]
	;; [unrolled: 1-line block ×10, first 2 shown]
	v_mul_f64 v[112:113], v[177:178], s[38:39]
	v_add_f64 v[106:107], v[106:107], v[110:111]
	v_add_f64 v[104:105], v[104:105], v[108:109]
	v_mul_f64 v[108:109], v[177:178], s[56:57]
	v_mul_f64 v[110:111], v[177:178], s[50:51]
	v_fma_f64 v[122:123], v[173:174], s[22:23], -v[112:113]
	v_fma_f64 v[112:113], v[173:174], s[22:23], v[112:113]
	v_add_f64 v[98:99], v[98:99], v[106:107]
	v_add_f64 v[96:97], v[96:97], v[104:105]
	v_mul_f64 v[104:105], v[177:178], s[58:59]
	v_mul_f64 v[106:107], v[177:178], s[42:43]
	v_fma_f64 v[118:119], v[173:174], s[24:25], v[108:109]
	v_fma_f64 v[108:109], v[173:174], s[24:25], -v[108:109]
	v_fma_f64 v[120:121], v[173:174], s[46:47], -v[110:111]
	v_fma_f64 v[110:111], v[173:174], s[46:47], v[110:111]
	v_add_f64 v[122:123], v[102:103], v[122:123]
	v_add_f64 v[94:95], v[94:95], v[98:99]
	v_mul_f64 v[98:99], v[171:172], s[10:11]
	v_add_f64 v[92:93], v[92:93], v[96:97]
	v_fma_f64 v[114:115], v[173:174], s[28:29], -v[104:105]
	v_fma_f64 v[104:105], v[173:174], s[28:29], v[104:105]
	v_fma_f64 v[116:117], v[173:174], s[40:41], v[106:107]
	v_fma_f64 v[106:107], v[173:174], s[40:41], -v[106:107]
	v_add_f64 v[118:119], v[102:103], v[118:119]
	v_add_f64 v[108:109], v[102:103], v[108:109]
	v_add_f64 v[120:121], v[102:103], v[120:121]
	v_add_f64 v[110:111], v[102:103], v[110:111]
	v_fma_f64 v[173:174], v[171:172], s[46:47], v[130:131]
	v_fma_f64 v[130:131], v[171:172], s[46:47], -v[130:131]
	v_add_f64 v[18:19], v[18:19], v[94:95]
	s_clause 0x3
	buffer_load_dword v94, off, s[60:63], 0 offset:80
	buffer_load_dword v95, off, s[60:63], 0 offset:84
	;; [unrolled: 1-line block ×4, first 2 shown]
	v_add_f64 v[98:99], v[98:99], v[4:5]
	s_clause 0x1
	buffer_load_dword v4, off, s[60:63], 0 offset:112
	buffer_load_dword v5, off, s[60:63], 0 offset:116
	v_add_f64 v[16:17], v[16:17], v[92:93]
	v_mul_f64 v[92:93], v[177:178], s[16:17]
	v_add_f64 v[114:115], v[102:103], v[114:115]
	v_add_f64 v[104:105], v[102:103], v[104:105]
	v_add_f64 v[116:117], v[102:103], v[116:117]
	v_add_f64 v[106:107], v[102:103], v[106:107]
	v_add_f64 v[173:174], v[100:101], v[173:174]
	v_add_f64 v[130:131], v[100:101], v[130:131]
	v_add_f64 v[18:19], v[14:15], v[18:19]
	v_mul_f64 v[14:15], v[161:162], s[30:31]
	v_add_f64 v[98:99], v[100:101], v[98:99]
	v_add_f64 v[16:17], v[12:13], v[16:17]
	v_mul_f64 v[12:13], v[221:222], s[18:19]
	v_add_f64 v[18:19], v[2:3], v[18:19]
	v_add_f64 v[16:17], v[0:1], v[16:17]
	v_add_f64 v[12:13], v[201:202], -v[12:13]
	s_waitcnt vmcnt(4)
	v_add_f64 v[92:93], v[94:95], -v[92:93]
	v_mul_f64 v[94:95], v[171:172], s[2:3]
	s_waitcnt vmcnt(0)
	v_add_f64 v[14:15], v[4:5], -v[14:15]
	s_clause 0x1
	buffer_load_dword v4, off, s[60:63], 0 offset:104
	buffer_load_dword v5, off, s[60:63], 0 offset:108
	v_add_f64 v[92:93], v[102:103], v[92:93]
	v_add_f64 v[94:95], v[94:95], v[96:97]
	v_mul_f64 v[96:97], v[177:178], s[20:21]
	v_fma_f64 v[177:178], v[171:172], s[22:23], v[132:133]
	v_fma_f64 v[132:133], v[171:172], s[22:23], -v[132:133]
	v_add_f64 v[14:15], v[14:15], v[92:93]
	v_add_f64 v[94:95], v[100:101], v[94:95]
	v_add_f64 v[96:97], v[6:7], -v[96:97]
	v_add_f64 v[171:172], v[100:101], v[177:178]
	v_add_f64 v[100:101], v[100:101], v[132:133]
	v_mul_f64 v[132:133], v[209:210], s[38:39]
	v_mul_f64 v[177:178], v[169:170], s[42:43]
	v_add_f64 v[96:97], v[102:103], v[96:97]
	v_add_f64 v[102:103], v[102:103], v[112:113]
	v_mul_f64 v[112:113], v[157:158], s[24:25]
	s_waitcnt vmcnt(0)
	v_add_f64 v[112:113], v[112:113], v[4:5]
	s_clause 0x1
	buffer_load_dword v4, off, s[60:63], 0 offset:192
	buffer_load_dword v5, off, s[60:63], 0 offset:196
	v_add_f64 v[92:93], v[112:113], v[94:95]
	v_mul_f64 v[94:95], v[215:216], s[8:9]
	v_mul_f64 v[112:113], v[233:234], s[48:49]
	v_add_f64 v[94:95], v[94:95], v[197:198]
	v_add_f64 v[112:113], v[223:224], -v[112:113]
	s_waitcnt vmcnt(0)
	v_add_f64 v[132:133], v[4:5], -v[132:133]
	s_clause 0x1
	buffer_load_dword v4, off, s[60:63], 0 offset:144
	buffer_load_dword v5, off, s[60:63], 0 offset:148
	s_waitcnt vmcnt(0)
	v_add_f64 v[177:178], v[4:5], -v[177:178]
	s_clause 0x1
	buffer_load_dword v4, off, s[60:63], 0 offset:136
	buffer_load_dword v5, off, s[60:63], 0 offset:140
	v_add_f64 v[14:15], v[177:178], v[14:15]
	v_mul_f64 v[177:178], v[227:228], s[46:47]
	v_add_f64 v[14:15], v[187:188], v[14:15]
	v_add_f64 v[177:178], v[177:178], v[217:218]
	v_mul_f64 v[187:188], v[221:222], s[50:51]
	v_add_f64 v[14:15], v[132:133], v[14:15]
	v_mul_f64 v[132:133], v[245:246], s[58:59]
	v_add_f64 v[187:188], v[195:196], -v[187:188]
	v_add_f64 v[12:13], v[12:13], v[14:15]
	v_add_f64 v[132:133], v[247:248], -v[132:133]
	v_add_f64 v[12:13], v[112:113], v[12:13]
	v_mul_f64 v[112:113], v[185:186], s[16:17]
	s_waitcnt vmcnt(0)
	v_add_f64 v[179:180], v[179:180], v[4:5]
	s_clause 0x1
	buffer_load_dword v4, off, s[60:63], 0 offset:184
	buffer_load_dword v5, off, s[60:63], 0 offset:188
	v_add_f64 v[92:93], v[179:180], v[92:93]
	v_mul_f64 v[179:180], v[205:206], s[40:41]
	v_add_f64 v[92:93], v[189:190], v[92:93]
	s_waitcnt vmcnt(0)
	v_add_f64 v[191:192], v[191:192], v[4:5]
	s_clause 0x1
	buffer_load_dword v4, off, s[60:63], 0 offset:96
	buffer_load_dword v5, off, s[60:63], 0 offset:100
	v_add_f64 v[92:93], v[191:192], v[92:93]
	v_add_f64 v[14:15], v[94:95], v[92:93]
	v_mul_f64 v[92:93], v[235:236], s[28:29]
	v_add_f64 v[94:95], v[177:178], v[14:15]
	v_add_f64 v[92:93], v[92:93], v[241:242]
	;; [unrolled: 1-line block ×3, first 2 shown]
	v_mul_f64 v[177:178], v[209:210], s[54:55]
	v_mul_f64 v[132:133], v[181:182], s[2:3]
	v_add_f64 v[12:13], v[92:93], v[94:95]
	v_mul_f64 v[92:93], v[169:170], s[38:39]
	v_mul_f64 v[94:95], v[165:166], s[22:23]
	s_waitcnt vmcnt(0)
	v_add_f64 v[8:9], v[4:5], -v[8:9]
	s_clause 0x1
	buffer_load_dword v4, off, s[60:63], 0 offset:88
	buffer_load_dword v5, off, s[60:63], 0 offset:92
	v_add_f64 v[8:9], v[8:9], v[96:97]
	v_mul_f64 v[96:97], v[215:216], s[46:47]
	v_add_f64 v[96:97], v[96:97], v[193:194]
	s_waitcnt vmcnt(0)
	v_add_f64 v[10:11], v[10:11], v[4:5]
	s_clause 0x1
	buffer_load_dword v4, off, s[60:63], 0 offset:128
	buffer_load_dword v5, off, s[60:63], 0 offset:132
	v_add_f64 v[10:11], v[10:11], v[98:99]
	v_mul_f64 v[98:99], v[245:246], s[30:31]
	v_add_f64 v[98:99], v[237:238], -v[98:99]
	s_waitcnt vmcnt(0)
	v_add_f64 v[92:93], v[4:5], -v[92:93]
	s_clause 0x1
	buffer_load_dword v4, off, s[60:63], 0 offset:120
	buffer_load_dword v5, off, s[60:63], 0 offset:124
	v_add_f64 v[8:9], v[92:93], v[8:9]
	v_mul_f64 v[92:93], v[233:234], s[18:19]
	v_add_f64 v[92:93], v[213:214], -v[92:93]
	s_waitcnt vmcnt(0)
	v_add_f64 v[94:95], v[94:95], v[4:5]
	s_clause 0x1
	buffer_load_dword v4, off, s[60:63], 0 offset:160
	buffer_load_dword v5, off, s[60:63], 0 offset:164
	v_add_f64 v[10:11], v[94:95], v[10:11]
	v_mul_f64 v[94:95], v[227:228], s[8:9]
	v_add_f64 v[94:95], v[94:95], v[203:204]
	s_waitcnt vmcnt(0)
	v_add_f64 v[112:113], v[4:5], -v[112:113]
	s_clause 0x3
	buffer_load_dword v4, off, s[60:63], 0 offset:152
	buffer_load_dword v5, off, s[60:63], 0 offset:156
	buffer_load_dword v0, off, s[60:63], 0 offset:176
	buffer_load_dword v1, off, s[60:63], 0 offset:180
	v_add_f64 v[8:9], v[112:113], v[8:9]
	s_waitcnt vmcnt(2)
	v_add_f64 v[132:133], v[132:133], v[4:5]
	s_waitcnt vmcnt(0)
	v_add_f64 v[177:178], v[0:1], -v[177:178]
	s_clause 0x5
	buffer_load_dword v0, off, s[60:63], 0 offset:168
	buffer_load_dword v1, off, s[60:63], 0 offset:172
	;; [unrolled: 1-line block ×6, first 2 shown]
	v_add_f64 v[10:11], v[132:133], v[10:11]
	v_add_f64 v[8:9], v[177:178], v[8:9]
	;; [unrolled: 1-line block ×3, first 2 shown]
	v_mul_f64 v[187:188], v[251:252], s[16:17]
	v_add_f64 v[8:9], v[92:93], v[8:9]
	v_fma_f64 v[191:192], v[235:236], s[2:3], v[187:188]
	v_fma_f64 v[187:188], v[235:236], s[2:3], -v[187:188]
	s_waitcnt vmcnt(4)
	v_add_f64 v[179:180], v[179:180], v[0:1]
	s_waitcnt vmcnt(2)
	v_add_f64 v[16:17], v[4:5], v[16:17]
	v_mul_f64 v[4:5], v[161:162], s[44:45]
	s_waitcnt vmcnt(0)
	v_add_f64 v[6:7], v[6:7], v[18:19]
	s_clause 0x3
	buffer_load_dword v0, off, s[60:63], 0
	buffer_load_dword v1, off, s[60:63], 0 offset:4
	buffer_load_dword v2, off, s[60:63], 0 offset:8
	;; [unrolled: 1-line block ×3, first 2 shown]
	v_add_f64 v[10:11], v[179:180], v[10:11]
	v_mul_f64 v[179:180], v[243:244], s[42:43]
	v_fma_f64 v[18:19], v[159:160], s[2:3], -v[4:5]
	v_fma_f64 v[4:5], v[159:160], s[2:3], v[4:5]
	v_add_f64 v[10:11], v[96:97], v[10:11]
	v_mul_f64 v[96:97], v[235:236], s[24:25]
	v_add_f64 v[18:19], v[18:19], v[114:115]
	v_add_f64 v[4:5], v[4:5], v[104:105]
	v_mul_f64 v[104:105], v[163:164], s[18:19]
	v_add_f64 v[92:93], v[94:95], v[10:11]
	v_add_f64 v[96:97], v[96:97], v[225:226]
	;; [unrolled: 1-line block ×3, first 2 shown]
	v_fma_f64 v[112:113], v[157:158], s[8:9], -v[104:105]
	v_fma_f64 v[104:105], v[157:158], s[8:9], v[104:105]
	v_add_f64 v[8:9], v[96:97], v[92:93]
	v_mul_f64 v[96:97], v[161:162], s[18:19]
	v_mul_f64 v[92:93], v[163:164], s[44:45]
	v_add_f64 v[112:113], v[112:113], v[136:137]
	v_add_f64 v[104:105], v[104:105], v[126:127]
	v_fma_f64 v[98:99], v[159:160], s[8:9], v[96:97]
	v_fma_f64 v[96:97], v[159:160], s[8:9], -v[96:97]
	v_fma_f64 v[94:95], v[157:158], s[2:3], -v[92:93]
	v_fma_f64 v[92:93], v[157:158], s[2:3], v[92:93]
	v_add_f64 v[98:99], v[98:99], v[116:117]
	v_add_f64 v[96:97], v[96:97], v[106:107]
	v_mul_f64 v[106:107], v[161:162], s[20:21]
	v_mul_f64 v[116:117], v[163:164], s[20:21]
	v_add_f64 v[92:93], v[92:93], v[124:125]
	v_add_f64 v[94:95], v[94:95], v[134:135]
	v_fma_f64 v[114:115], v[159:160], s[10:11], v[106:107]
	v_fma_f64 v[106:107], v[159:160], s[10:11], -v[106:107]
	v_add_f64 v[114:115], v[114:115], v[118:119]
	v_fma_f64 v[118:119], v[157:158], s[10:11], -v[116:117]
	v_add_f64 v[106:107], v[106:107], v[108:109]
	v_fma_f64 v[108:109], v[157:158], s[10:11], v[116:117]
	v_mul_f64 v[116:117], v[169:170], s[48:49]
	v_add_f64 v[118:119], v[118:119], v[138:139]
	v_add_f64 v[108:109], v[108:109], v[128:129]
	v_fma_f64 v[124:125], v[167:168], s[46:47], -v[116:117]
	v_fma_f64 v[116:117], v[167:168], s[46:47], v[116:117]
	v_add_f64 v[18:19], v[124:125], v[18:19]
	v_add_f64 v[4:5], v[116:117], v[4:5]
	v_mul_f64 v[116:117], v[175:176], s[48:49]
	v_fma_f64 v[124:125], v[165:166], s[46:47], -v[116:117]
	v_fma_f64 v[116:117], v[165:166], s[46:47], v[116:117]
	v_add_f64 v[94:95], v[124:125], v[94:95]
	v_add_f64 v[92:93], v[116:117], v[92:93]
	v_mul_f64 v[116:117], v[169:170], s[34:35]
	v_fma_f64 v[124:125], v[167:168], s[28:29], v[116:117]
	v_fma_f64 v[116:117], v[167:168], s[28:29], -v[116:117]
	v_add_f64 v[98:99], v[124:125], v[98:99]
	v_mul_f64 v[124:125], v[175:176], s[34:35]
	v_add_f64 v[96:97], v[116:117], v[96:97]
	v_fma_f64 v[116:117], v[165:166], s[28:29], v[124:125]
	v_fma_f64 v[126:127], v[165:166], s[28:29], -v[124:125]
	v_add_f64 v[104:105], v[116:117], v[104:105]
	v_mul_f64 v[116:117], v[169:170], s[36:37]
	v_add_f64 v[112:113], v[126:127], v[112:113]
	;; [unrolled: 5-line block ×3, first 2 shown]
	v_mul_f64 v[116:117], v[185:186], s[56:57]
	v_fma_f64 v[126:127], v[165:166], s[8:9], -v[124:125]
	v_add_f64 v[118:119], v[126:127], v[118:119]
	v_fma_f64 v[126:127], v[183:184], s[24:25], -v[116:117]
	v_fma_f64 v[116:117], v[183:184], s[24:25], v[116:117]
	v_add_f64 v[18:19], v[126:127], v[18:19]
	v_add_f64 v[4:5], v[116:117], v[4:5]
	v_mul_f64 v[116:117], v[199:200], s[56:57]
	v_fma_f64 v[126:127], v[181:182], s[24:25], -v[116:117]
	v_fma_f64 v[116:117], v[181:182], s[24:25], v[116:117]
	v_add_f64 v[94:95], v[126:127], v[94:95]
	v_add_f64 v[92:93], v[116:117], v[92:93]
	v_mul_f64 v[116:117], v[185:186], s[26:27]
	v_fma_f64 v[126:127], v[183:184], s[22:23], v[116:117]
	v_fma_f64 v[116:117], v[183:184], s[22:23], -v[116:117]
	v_add_f64 v[98:99], v[126:127], v[98:99]
	v_mul_f64 v[126:127], v[199:200], s[26:27]
	v_add_f64 v[96:97], v[116:117], v[96:97]
	v_fma_f64 v[116:117], v[181:182], s[22:23], v[126:127]
	v_fma_f64 v[128:129], v[181:182], s[22:23], -v[126:127]
	v_add_f64 v[104:105], v[116:117], v[104:105]
	v_mul_f64 v[116:117], v[185:186], s[34:35]
	v_add_f64 v[112:113], v[128:129], v[112:113]
	v_fma_f64 v[126:127], v[183:184], s[28:29], v[116:117]
	v_add_f64 v[114:115], v[126:127], v[114:115]
	v_mul_f64 v[126:127], v[199:200], s[34:35]
	v_fma_f64 v[128:129], v[181:182], s[28:29], -v[126:127]
	v_add_f64 v[118:119], v[128:129], v[118:119]
	v_mul_f64 v[128:129], v[209:210], s[18:19]
	v_fma_f64 v[132:133], v[207:208], s[8:9], -v[128:129]
	v_fma_f64 v[128:129], v[207:208], s[8:9], v[128:129]
	v_add_f64 v[18:19], v[132:133], v[18:19]
	v_add_f64 v[4:5], v[128:129], v[4:5]
	v_mul_f64 v[128:129], v[211:212], s[18:19]
	v_fma_f64 v[132:133], v[205:206], s[8:9], -v[128:129]
	v_fma_f64 v[128:129], v[205:206], s[8:9], v[128:129]
	v_add_f64 v[94:95], v[132:133], v[94:95]
	v_add_f64 v[92:93], v[128:129], v[92:93]
	v_mul_f64 v[128:129], v[209:210], s[56:57]
	v_fma_f64 v[132:133], v[207:208], s[24:25], v[128:129]
	v_fma_f64 v[128:129], v[207:208], s[24:25], -v[128:129]
	v_add_f64 v[98:99], v[132:133], v[98:99]
	v_mul_f64 v[132:133], v[211:212], s[56:57]
	v_add_f64 v[96:97], v[128:129], v[96:97]
	v_mul_f64 v[128:129], v[221:222], s[54:55]
	v_fma_f64 v[134:135], v[205:206], s[24:25], -v[132:133]
	v_add_f64 v[112:113], v[134:135], v[112:113]
	v_fma_f64 v[134:135], v[219:220], s[40:41], -v[128:129]
	v_fma_f64 v[128:129], v[219:220], s[40:41], v[128:129]
	v_add_f64 v[18:19], v[134:135], v[18:19]
	v_add_f64 v[4:5], v[128:129], v[4:5]
	v_mul_f64 v[128:129], v[231:232], s[54:55]
	v_fma_f64 v[134:135], v[215:216], s[40:41], -v[128:129]
	v_fma_f64 v[128:129], v[215:216], s[40:41], v[128:129]
	v_add_f64 v[94:95], v[134:135], v[94:95]
	v_add_f64 v[92:93], v[128:129], v[92:93]
	v_mul_f64 v[128:129], v[221:222], s[16:17]
	v_fma_f64 v[134:135], v[219:220], s[2:3], v[128:129]
	v_fma_f64 v[128:129], v[219:220], s[2:3], -v[128:129]
	v_add_f64 v[98:99], v[134:135], v[98:99]
	v_mul_f64 v[134:135], v[231:232], s[16:17]
	v_add_f64 v[96:97], v[128:129], v[96:97]
	v_mul_f64 v[128:129], v[233:234], s[38:39]
	v_fma_f64 v[136:137], v[215:216], s[2:3], -v[134:135]
	v_add_f64 v[112:113], v[136:137], v[112:113]
	v_fma_f64 v[136:137], v[229:230], s[22:23], -v[128:129]
	v_fma_f64 v[128:129], v[229:230], s[22:23], v[128:129]
	v_add_f64 v[18:19], v[136:137], v[18:19]
	v_add_f64 v[128:129], v[128:129], v[4:5]
	v_mul_f64 v[4:5], v[243:244], s[38:39]
	v_fma_f64 v[136:137], v[227:228], s[22:23], -v[4:5]
	v_fma_f64 v[4:5], v[227:228], s[22:23], v[4:5]
	v_add_f64 v[136:137], v[136:137], v[94:95]
	v_add_f64 v[138:139], v[4:5], v[92:93]
	v_mul_f64 v[4:5], v[233:234], s[52:53]
	v_fma_f64 v[94:95], v[205:206], s[24:25], v[132:133]
	v_fma_f64 v[92:93], v[229:230], s[10:11], v[4:5]
	v_fma_f64 v[4:5], v[229:230], s[10:11], -v[4:5]
	v_add_f64 v[94:95], v[94:95], v[104:105]
	v_add_f64 v[177:178], v[92:93], v[98:99]
	v_fma_f64 v[92:93], v[183:184], s[28:29], -v[116:117]
	v_mul_f64 v[98:99], v[209:210], s[48:49]
	v_add_f64 v[96:97], v[4:5], v[96:97]
	v_add_f64 v[92:93], v[92:93], v[106:107]
	v_fma_f64 v[4:5], v[207:208], s[46:47], -v[98:99]
	v_fma_f64 v[104:105], v[207:208], s[46:47], v[98:99]
	v_mul_f64 v[106:107], v[243:244], s[52:53]
	v_add_f64 v[4:5], v[4:5], v[92:93]
	v_fma_f64 v[92:93], v[215:216], s[2:3], v[134:135]
	v_add_f64 v[104:105], v[104:105], v[114:115]
	v_fma_f64 v[114:115], v[227:228], s[10:11], -v[106:107]
	v_fma_f64 v[106:107], v[227:228], s[10:11], v[106:107]
	v_add_f64 v[92:93], v[92:93], v[94:95]
	v_mul_f64 v[94:95], v[221:222], s[38:39]
	v_add_f64 v[112:113], v[114:115], v[112:113]
	v_fma_f64 v[114:115], v[165:166], s[8:9], v[124:125]
	v_mul_f64 v[124:125], v[163:164], s[42:43]
	v_fma_f64 v[98:99], v[219:220], s[22:23], v[94:95]
	v_fma_f64 v[94:95], v[219:220], s[22:23], -v[94:95]
	v_add_f64 v[108:109], v[114:115], v[108:109]
	v_mul_f64 v[114:115], v[211:212], s[48:49]
	v_fma_f64 v[132:133], v[157:158], s[40:41], v[124:125]
	v_fma_f64 v[124:125], v[157:158], s[40:41], -v[124:125]
	v_add_f64 v[98:99], v[98:99], v[104:105]
	v_fma_f64 v[104:105], v[181:182], s[28:29], v[126:127]
	v_add_f64 v[4:5], v[94:95], v[4:5]
	v_fma_f64 v[116:117], v[205:206], s[46:47], -v[114:115]
	v_fma_f64 v[94:95], v[205:206], s[46:47], v[114:115]
	v_mul_f64 v[126:127], v[163:164], s[50:51]
	v_add_f64 v[132:133], v[132:133], v[173:174]
	v_mul_f64 v[163:164], v[211:212], s[44:45]
	v_mul_f64 v[173:174], v[243:244], s[30:31]
	v_add_f64 v[104:105], v[104:105], v[108:109]
	v_mul_f64 v[108:109], v[231:232], s[38:39]
	v_add_f64 v[116:117], v[116:117], v[118:119]
	v_fma_f64 v[134:135], v[157:158], s[46:47], v[126:127]
	v_fma_f64 v[126:127], v[157:158], s[46:47], -v[126:127]
	v_mul_f64 v[157:158], v[175:176], s[56:57]
	v_add_f64 v[94:95], v[94:95], v[104:105]
	v_fma_f64 v[118:119], v[215:216], s[22:23], -v[108:109]
	v_mul_f64 v[104:105], v[161:162], s[42:43]
	v_fma_f64 v[108:109], v[215:216], s[22:23], v[108:109]
	v_add_f64 v[100:101], v[126:127], v[100:101]
	v_add_f64 v[116:117], v[118:119], v[116:117]
	v_fma_f64 v[114:115], v[159:160], s[40:41], -v[104:105]
	v_mul_f64 v[118:119], v[161:162], s[50:51]
	v_fma_f64 v[104:105], v[159:160], s[40:41], v[104:105]
	v_fma_f64 v[161:162], v[165:166], s[24:25], v[157:158]
	v_fma_f64 v[157:158], v[165:166], s[24:25], -v[157:158]
	v_add_f64 v[94:95], v[108:109], v[94:95]
	v_add_f64 v[114:115], v[114:115], v[120:121]
	v_fma_f64 v[120:121], v[159:160], s[46:47], -v[118:119]
	v_fma_f64 v[118:119], v[159:160], s[46:47], v[118:119]
	v_add_f64 v[104:105], v[104:105], v[110:111]
	v_add_f64 v[110:111], v[124:125], v[130:131]
	v_mul_f64 v[124:125], v[169:170], s[20:21]
	v_add_f64 v[100:101], v[157:158], v[100:101]
	v_mul_f64 v[157:158], v[209:210], s[58:59]
	v_add_f64 v[120:121], v[120:121], v[122:123]
	v_add_f64 v[102:103], v[118:119], v[102:103]
	v_mul_f64 v[118:119], v[175:176], s[20:21]
	v_add_f64 v[122:123], v[134:135], v[171:172]
	v_fma_f64 v[130:131], v[167:168], s[10:11], -v[124:125]
	v_fma_f64 v[124:125], v[167:168], s[10:11], v[124:125]
	v_mul_f64 v[171:172], v[231:232], s[34:35]
	v_fma_f64 v[159:160], v[165:166], s[10:11], v[118:119]
	v_fma_f64 v[118:119], v[165:166], s[10:11], -v[118:119]
	v_add_f64 v[114:115], v[130:131], v[114:115]
	v_mul_f64 v[130:131], v[169:170], s[56:57]
	v_add_f64 v[104:105], v[124:125], v[104:105]
	v_add_f64 v[122:123], v[161:162], v[122:123]
	v_mul_f64 v[165:166], v[221:222], s[20:21]
	v_mul_f64 v[169:170], v[231:232], s[20:21]
	v_add_f64 v[126:127], v[159:160], v[132:133]
	v_add_f64 v[110:111], v[118:119], v[110:111]
	v_mul_f64 v[118:119], v[185:186], s[18:19]
	v_fma_f64 v[134:135], v[167:168], s[24:25], -v[130:131]
	v_fma_f64 v[130:131], v[167:168], s[24:25], v[130:131]
	v_fma_f64 v[124:125], v[183:184], s[8:9], -v[118:119]
	v_add_f64 v[120:121], v[134:135], v[120:121]
	v_add_f64 v[102:103], v[130:131], v[102:103]
	v_mul_f64 v[130:131], v[199:200], s[18:19]
	v_mul_f64 v[134:135], v[199:200], s[42:43]
	v_fma_f64 v[118:119], v[183:184], s[8:9], v[118:119]
	v_add_f64 v[114:115], v[124:125], v[114:115]
	v_mul_f64 v[124:125], v[185:186], s[42:43]
	v_mul_f64 v[185:186], v[251:252], s[26:27]
	v_fma_f64 v[159:160], v[181:182], s[8:9], v[130:131]
	v_fma_f64 v[130:131], v[181:182], s[8:9], -v[130:131]
	v_fma_f64 v[161:162], v[181:182], s[40:41], v[134:135]
	v_add_f64 v[104:105], v[118:119], v[104:105]
	v_mul_f64 v[118:119], v[221:222], s[34:35]
	v_fma_f64 v[134:135], v[181:182], s[40:41], -v[134:135]
	v_mul_f64 v[181:182], v[251:252], s[48:49]
	v_fma_f64 v[132:133], v[183:184], s[40:41], -v[124:125]
	v_fma_f64 v[124:125], v[183:184], s[40:41], v[124:125]
	v_add_f64 v[126:127], v[159:160], v[126:127]
	v_add_f64 v[110:111], v[130:131], v[110:111]
	;; [unrolled: 1-line block ×3, first 2 shown]
	v_fma_f64 v[130:131], v[207:208], s[28:29], -v[157:158]
	v_fma_f64 v[167:168], v[219:220], s[28:29], -v[118:119]
	v_fma_f64 v[118:119], v[219:220], s[28:29], v[118:119]
	v_mul_f64 v[159:160], v[211:212], s[58:59]
	v_fma_f64 v[157:158], v[207:208], s[28:29], v[157:158]
	v_add_f64 v[100:101], v[134:135], v[100:101]
	v_mul_f64 v[134:135], v[233:234], s[42:43]
	v_mul_f64 v[183:184], v[251:252], s[18:19]
	v_fma_f64 v[189:190], v[235:236], s[22:23], v[185:186]
	v_fma_f64 v[193:194], v[235:236], s[46:47], v[181:182]
	v_fma_f64 v[181:182], v[235:236], s[46:47], -v[181:182]
	v_fma_f64 v[185:186], v[235:236], s[22:23], -v[185:186]
	v_add_f64 v[120:121], v[132:133], v[120:121]
	v_mul_f64 v[132:133], v[209:210], s[44:45]
	v_add_f64 v[102:103], v[124:125], v[102:103]
	v_fma_f64 v[124:125], v[205:206], s[28:29], v[159:160]
	v_fma_f64 v[159:160], v[205:206], s[28:29], -v[159:160]
	v_add_f64 v[112:113], v[181:182], v[112:113]
	v_add_f64 v[120:121], v[130:131], v[120:121]
	v_fma_f64 v[161:162], v[207:208], s[2:3], -v[132:133]
	v_fma_f64 v[132:133], v[207:208], s[2:3], v[132:133]
	v_mul_f64 v[130:131], v[233:234], s[30:31]
	v_add_f64 v[102:103], v[157:158], v[102:103]
	v_mul_f64 v[157:158], v[243:244], s[16:17]
	v_add_f64 v[122:123], v[124:125], v[122:123]
	v_add_f64 v[100:101], v[159:160], v[100:101]
	v_fma_f64 v[159:160], v[227:228], s[24:25], v[173:174]
	v_fma_f64 v[173:174], v[227:228], s[24:25], -v[173:174]
	v_add_f64 v[114:115], v[161:162], v[114:115]
	v_add_f64 v[104:105], v[132:133], v[104:105]
	v_fma_f64 v[175:176], v[229:230], s[24:25], -v[130:131]
	v_fma_f64 v[130:131], v[229:230], s[24:25], v[130:131]
	v_fma_f64 v[161:162], v[205:206], s[2:3], v[163:164]
	v_fma_f64 v[163:164], v[205:206], s[2:3], -v[163:164]
	v_fma_f64 v[132:133], v[215:216], s[10:11], v[169:170]
	v_fma_f64 v[169:170], v[215:216], s[10:11], -v[169:170]
	v_add_f64 v[114:115], v[167:168], v[114:115]
	v_add_f64 v[104:105], v[118:119], v[104:105]
	v_fma_f64 v[167:168], v[229:230], s[40:41], -v[134:135]
	v_fma_f64 v[118:119], v[227:228], s[2:3], v[157:158]
	v_add_f64 v[124:125], v[161:162], v[126:127]
	v_add_f64 v[110:111], v[163:164], v[110:111]
	v_fma_f64 v[126:127], v[219:220], s[10:11], -v[165:166]
	v_mul_f64 v[163:164], v[233:234], s[16:17]
	v_fma_f64 v[161:162], v[215:216], s[28:29], v[171:172]
	v_fma_f64 v[171:172], v[215:216], s[28:29], -v[171:172]
	v_fma_f64 v[165:166], v[219:220], s[10:11], v[165:166]
	v_add_f64 v[122:123], v[132:133], v[122:123]
	v_fma_f64 v[134:135], v[229:230], s[40:41], v[134:135]
	v_fma_f64 v[157:158], v[227:228], s[2:3], -v[157:158]
	v_add_f64 v[100:101], v[169:170], v[100:101]
	v_add_f64 v[169:170], v[106:107], v[92:93]
	;; [unrolled: 1-line block ×4, first 2 shown]
	s_waitcnt vmcnt(2)
	v_add_f64 v[104:105], v[0:1], v[16:17]
	s_clause 0x1
	buffer_load_dword v0, off, s[60:63], 0 offset:52
	buffer_load_dword v1, off, s[60:63], 0 offset:32
	v_mul_f64 v[175:176], v[245:246], s[18:19]
	v_add_f64 v[120:121], v[126:127], v[120:121]
	v_fma_f64 v[108:109], v[229:230], s[2:3], -v[163:164]
	v_add_f64 v[124:125], v[161:162], v[124:125]
	v_fma_f64 v[161:162], v[227:228], s[40:41], v[179:180]
	v_fma_f64 v[179:180], v[227:228], s[40:41], -v[179:180]
	v_mul_f64 v[126:127], v[245:246], s[20:21]
	v_add_f64 v[132:133], v[167:168], v[4:5]
	v_add_f64 v[110:111], v[171:172], v[110:111]
	v_mul_f64 v[167:168], v[245:246], s[48:49]
	v_mul_f64 v[171:172], v[245:246], s[26:27]
	v_add_f64 v[102:103], v[165:166], v[102:103]
	v_mul_f64 v[165:166], v[245:246], s[16:17]
	v_mul_f64 v[4:5], v[251:252], s[20:21]
	v_fma_f64 v[163:164], v[229:230], s[2:3], v[163:164]
	v_add_f64 v[118:119], v[118:119], v[122:123]
	v_add_f64 v[134:135], v[134:135], v[98:99]
	v_add_f64 v[157:158], v[157:158], v[100:101]
	v_add_f64 v[16:17], v[193:194], v[169:170]
	v_fma_f64 v[106:107], v[239:240], s[8:9], -v[175:176]
	v_fma_f64 v[175:176], v[239:240], s[8:9], v[175:176]
	v_add_f64 v[108:109], v[108:109], v[120:121]
	v_add_f64 v[122:123], v[159:160], v[124:125]
	;; [unrolled: 1-line block ×4, first 2 shown]
	v_fma_f64 v[179:180], v[235:236], s[8:9], v[183:184]
	v_fma_f64 v[120:121], v[239:240], s[10:11], -v[126:127]
	v_fma_f64 v[126:127], v[239:240], s[10:11], v[126:127]
	v_fma_f64 v[92:93], v[239:240], s[46:47], -v[167:168]
	v_fma_f64 v[98:99], v[239:240], s[22:23], -v[171:172]
	v_fma_f64 v[167:168], v[239:240], s[46:47], v[167:168]
	v_fma_f64 v[94:95], v[239:240], s[2:3], -v[165:166]
	v_fma_f64 v[161:162], v[235:236], s[10:11], v[4:5]
	;; [unrolled: 2-line block ×3, first 2 shown]
	v_add_f64 v[173:174], v[173:174], v[110:111]
	v_fma_f64 v[171:172], v[239:240], s[22:23], v[171:172]
	v_add_f64 v[163:164], v[163:164], v[102:103]
	v_fma_f64 v[183:184], v[235:236], s[8:9], -v[183:184]
	v_add_f64 v[102:103], v[106:107], v[108:109]
	s_waitcnt vmcnt(2)
	v_add_f64 v[106:107], v[2:3], v[6:7]
	v_add_f64 v[116:117], v[187:188], v[116:117]
	;; [unrolled: 1-line block ×18, first 2 shown]
	s_waitcnt vmcnt(1)
	v_and_b32_e32 v0, 0xffff, v0
	s_waitcnt vmcnt(0)
	v_lshl_add_u32 v0, v0, 4, v1
	ds_write_b128 v0, v[104:107]
	ds_write_b128 v0, v[100:103] offset:16
	ds_write_b128 v0, v[96:99] offset:32
	ds_write_b128 v0, v[92:95] offset:48
	ds_write_b128 v0, v[16:19] offset:64
	ds_write_b128 v0, v[2:5] offset:80
	ds_write_b128 v0, v[8:11] offset:96
	ds_write_b128 v0, v[12:15] offset:112
	ds_write_b128 v0, v[148:151] offset:128
	ds_write_b128 v0, v[152:155] offset:144
	ds_write_b128 v0, v[144:147] offset:160
	ds_write_b128 v0, v[140:143] offset:176
	ds_write_b128 v0, v[108:111] offset:192
	ds_write_b128 v0, v[112:115] offset:208
	ds_write_b128 v0, v[116:119] offset:224
	ds_write_b128 v0, v[120:123] offset:240
	ds_write_b128 v0, v[124:127] offset:256
.LBB0_17:
	s_or_b32 exec_lo, exec_lo, s1
	s_waitcnt lgkmcnt(0)
	s_barrier
	buffer_gl0_inv
	ds_read_b128 v[0:3], v255
	ds_read_b128 v[4:7], v255 offset:1088
	ds_read_b128 v[92:95], v255 offset:2720
	;; [unrolled: 1-line block ×7, first 2 shown]
	s_and_saveexec_b32 s1, s0
	s_cbranch_execz .LBB0_19
; %bb.18:
	ds_read_b128 v[148:151], v255 offset:2176
	ds_read_b128 v[152:155], v255 offset:4896
	;; [unrolled: 1-line block ×4, first 2 shown]
.LBB0_19:
	s_or_b32 exec_lo, exec_lo, s1
	s_waitcnt lgkmcnt(5)
	v_mul_f64 v[104:105], v[62:63], v[94:95]
	v_mul_f64 v[62:63], v[62:63], v[92:93]
	s_waitcnt lgkmcnt(3)
	v_mul_f64 v[106:107], v[58:59], v[98:99]
	v_mul_f64 v[58:59], v[58:59], v[96:97]
	;; [unrolled: 3-line block ×3, first 2 shown]
	v_mul_f64 v[110:111], v[50:51], v[10:11]
	v_mul_f64 v[50:51], v[50:51], v[8:9]
	;; [unrolled: 1-line block ×4, first 2 shown]
	s_waitcnt lgkmcnt(0)
	v_mul_f64 v[114:115], v[42:43], v[18:19]
	v_mul_f64 v[42:43], v[42:43], v[16:17]
	s_barrier
	buffer_gl0_inv
	v_fma_f64 v[92:93], v[60:61], v[92:93], v[104:105]
	v_fma_f64 v[60:61], v[60:61], v[94:95], -v[62:63]
	v_fma_f64 v[62:63], v[56:57], v[96:97], v[106:107]
	v_fma_f64 v[56:57], v[56:57], v[98:99], -v[58:59]
	;; [unrolled: 2-line block ×6, first 2 shown]
	v_add_f64 v[40:41], v[0:1], -v[62:63]
	v_add_f64 v[42:43], v[2:3], -v[56:57]
	;; [unrolled: 1-line block ×8, first 2 shown]
	v_fma_f64 v[50:51], v[0:1], 2.0, -v[40:41]
	v_fma_f64 v[54:55], v[2:3], 2.0, -v[42:43]
	;; [unrolled: 1-line block ×4, first 2 shown]
	v_add_f64 v[0:1], v[40:41], v[46:47]
	v_add_f64 v[2:3], v[42:43], -v[44:45]
	v_fma_f64 v[56:57], v[4:5], 2.0, -v[48:49]
	v_fma_f64 v[58:59], v[6:7], 2.0, -v[52:53]
	;; [unrolled: 1-line block ×4, first 2 shown]
	v_add_f64 v[4:5], v[48:49], v[12:13]
	v_add_f64 v[8:9], v[50:51], -v[14:15]
	v_add_f64 v[10:11], v[54:55], -v[18:19]
	v_fma_f64 v[18:19], v[42:43], 2.0, -v[2:3]
	v_add_f64 v[12:13], v[56:57], -v[6:7]
	v_add_f64 v[14:15], v[58:59], -v[60:61]
	;; [unrolled: 1-line block ×3, first 2 shown]
	v_fma_f64 v[16:17], v[40:41], 2.0, -v[0:1]
	v_fma_f64 v[40:41], v[48:49], 2.0, -v[4:5]
	;; [unrolled: 1-line block ×7, first 2 shown]
	ds_write_b128 v253, v[0:3] offset:816
	ds_write_b128 v253, v[16:19] offset:272
	;; [unrolled: 1-line block ×3, first 2 shown]
	ds_write_b128 v253, v[44:47]
	ds_write_b128 v250, v[48:51]
	ds_write_b128 v250, v[40:43] offset:272
	ds_write_b128 v250, v[12:15] offset:544
	;; [unrolled: 1-line block ×3, first 2 shown]
	s_and_saveexec_b32 s1, s0
	s_cbranch_execz .LBB0_21
; %bb.20:
	v_mul_f64 v[0:1], v[26:27], v[144:145]
	v_mul_f64 v[2:3], v[30:31], v[154:155]
	;; [unrolled: 1-line block ×6, first 2 shown]
	v_fma_f64 v[0:1], v[24:25], v[146:147], -v[0:1]
	v_fma_f64 v[2:3], v[28:29], v[152:153], v[2:3]
	v_fma_f64 v[4:5], v[28:29], v[154:155], -v[4:5]
	v_fma_f64 v[6:7], v[20:21], v[142:143], -v[6:7]
	v_fma_f64 v[8:9], v[24:25], v[144:145], v[8:9]
	v_fma_f64 v[10:11], v[20:21], v[140:141], v[10:11]
	v_add_f64 v[12:13], v[150:151], -v[0:1]
	v_add_f64 v[0:1], v[4:5], -v[6:7]
	;; [unrolled: 1-line block ×4, first 2 shown]
	v_fma_f64 v[14:15], v[150:151], 2.0, -v[12:13]
	v_fma_f64 v[4:5], v[4:5], 2.0, -v[0:1]
	;; [unrolled: 1-line block ×4, first 2 shown]
	v_add_f64 v[2:3], v[12:13], -v[6:7]
	v_add_f64 v[0:1], v[8:9], v[0:1]
	v_add_f64 v[6:7], v[14:15], -v[4:5]
	v_add_f64 v[4:5], v[16:17], -v[10:11]
	v_fma_f64 v[10:11], v[12:13], 2.0, -v[2:3]
	v_fma_f64 v[8:9], v[8:9], 2.0, -v[0:1]
	v_fma_f64 v[14:15], v[14:15], 2.0, -v[6:7]
	v_fma_f64 v[12:13], v[16:17], 2.0, -v[4:5]
	buffer_load_dword v17, off, s[60:63], 0 offset:36 ; 4-byte Folded Reload
	v_mov_b32_e32 v16, 0x44
	s_waitcnt vmcnt(0)
	v_mul_u32_u24_sdwa v16, v17, v16 dst_sel:DWORD dst_unused:UNUSED_PAD src0_sel:WORD_0 src1_sel:DWORD
	buffer_load_dword v17, off, s[60:63], 0 offset:56 ; 4-byte Folded Reload
	s_waitcnt vmcnt(0)
	v_add_nc_u32_e32 v16, v16, v17
	buffer_load_dword v17, off, s[60:63], 0 offset:32 ; 4-byte Folded Reload
	s_waitcnt vmcnt(0)
	v_lshl_add_u32 v16, v16, 4, v17
	ds_write_b128 v16, v[8:11] offset:272
	ds_write_b128 v16, v[4:7] offset:544
	ds_write_b128 v16, v[12:15]
	ds_write_b128 v16, v[0:3] offset:816
.LBB0_21:
	s_or_b32 exec_lo, exec_lo, s1
	s_waitcnt lgkmcnt(0)
	s_barrier
	buffer_gl0_inv
	ds_read_b128 v[0:3], v255 offset:3264
	ds_read_b128 v[4:7], v255 offset:5440
	;; [unrolled: 1-line block ×9, first 2 shown]
	ds_read_b128 v[44:47], v255
	s_mov_b32 s8, 0x134454ff
	s_mov_b32 s9, 0xbfee6f0e
	;; [unrolled: 1-line block ×10, first 2 shown]
	s_waitcnt lgkmcnt(9)
	v_mul_f64 v[48:49], v[38:39], v[0:1]
	s_waitcnt lgkmcnt(8)
	v_mul_f64 v[50:51], v[70:71], v[4:5]
	;; [unrolled: 2-line block ×5, first 2 shown]
	v_mul_f64 v[38:39], v[38:39], v[2:3]
	v_mul_f64 v[70:71], v[70:71], v[6:7]
	;; [unrolled: 1-line block ×3, first 2 shown]
	s_waitcnt lgkmcnt(1)
	v_mul_f64 v[92:93], v[78:79], v[40:41]
	v_mul_f64 v[78:79], v[78:79], v[42:43]
	;; [unrolled: 1-line block ×10, first 2 shown]
	s_mov_b32 s18, 0x9b97f4a8
	s_mov_b32 s19, 0x3fe9e377
	;; [unrolled: 1-line block ×4, first 2 shown]
	v_fma_f64 v[2:3], v[36:37], v[2:3], -v[48:49]
	v_fma_f64 v[6:7], v[68:69], v[6:7], -v[50:51]
	v_fma_f64 v[10:11], v[64:65], v[10:11], -v[52:53]
	v_fma_f64 v[14:15], v[72:73], v[14:15], -v[54:55]
	v_fma_f64 v[18:19], v[32:33], v[18:19], -v[56:57]
	v_fma_f64 v[0:1], v[36:37], v[0:1], v[38:39]
	v_fma_f64 v[4:5], v[68:69], v[4:5], v[70:71]
	;; [unrolled: 1-line block ×3, first 2 shown]
	v_fma_f64 v[36:37], v[76:77], v[42:43], -v[92:93]
	v_fma_f64 v[38:39], v[76:77], v[40:41], v[78:79]
	v_fma_f64 v[12:13], v[72:73], v[12:13], v[74:75]
	;; [unrolled: 1-line block ×3, first 2 shown]
	v_fma_f64 v[22:23], v[88:89], v[22:23], -v[60:61]
	v_fma_f64 v[24:25], v[84:85], v[24:25], v[62:63]
	v_fma_f64 v[26:27], v[84:85], v[26:27], -v[86:87]
	v_fma_f64 v[28:29], v[80:81], v[28:29], v[90:91]
	;; [unrolled: 2-line block ×3, first 2 shown]
	s_mov_b32 s23, 0xbfe9e377
	s_mov_b32 s22, s18
	v_add_f64 v[84:85], v[2:3], -v[6:7]
	v_add_f64 v[40:41], v[6:7], v[10:11]
	v_add_f64 v[42:43], v[2:3], v[14:15]
	v_add_f64 v[82:83], v[2:3], -v[14:15]
	v_add_f64 v[86:87], v[14:15], -v[10:11]
	;; [unrolled: 1-line block ×3, first 2 shown]
	v_add_f64 v[56:57], v[4:5], v[8:9]
	v_add_f64 v[62:63], v[4:5], -v[8:9]
	v_add_f64 v[88:89], v[6:7], -v[2:3]
	v_add_f64 v[58:59], v[0:1], v[12:13]
	v_add_f64 v[60:61], v[0:1], -v[12:13]
	s_waitcnt lgkmcnt(0)
	v_add_f64 v[32:33], v[44:45], v[20:21]
	v_add_f64 v[52:53], v[20:21], -v[24:25]
	v_add_f64 v[64:65], v[20:21], v[38:39]
	v_add_f64 v[34:35], v[24:25], v[28:29]
	v_add_f64 v[54:55], v[38:39], -v[28:29]
	v_add_f64 v[72:73], v[26:27], v[30:31]
	;; [unrolled: 3-line block ×3, first 2 shown]
	v_add_f64 v[2:3], v[18:19], v[2:3]
	v_add_f64 v[48:49], v[22:23], -v[36:37]
	v_add_f64 v[50:51], v[26:27], -v[30:31]
	v_fma_f64 v[40:41], v[40:41], -0.5, v[18:19]
	v_fma_f64 v[42:43], v[42:43], -0.5, v[18:19]
	v_add_f64 v[66:67], v[24:25], -v[20:21]
	v_add_f64 v[68:69], v[28:29], -v[38:39]
	;; [unrolled: 1-line block ×3, first 2 shown]
	v_fma_f64 v[56:57], v[56:57], -0.5, v[16:17]
	v_add_f64 v[74:75], v[24:25], -v[28:29]
	v_add_f64 v[100:101], v[0:1], -v[4:5]
	v_fma_f64 v[58:59], v[58:59], -0.5, v[16:17]
	v_add_f64 v[16:17], v[16:17], v[0:1]
	v_add_f64 v[102:103], v[12:13], -v[8:9]
	v_add_f64 v[0:1], v[4:5], -v[0:1]
	;; [unrolled: 1-line block ×3, first 2 shown]
	v_fma_f64 v[18:19], v[34:35], -0.5, v[44:45]
	v_add_f64 v[24:25], v[32:33], v[24:25]
	v_fma_f64 v[32:33], v[64:65], -0.5, v[44:45]
	v_add_f64 v[34:35], v[52:53], v[54:55]
	v_fma_f64 v[44:45], v[72:73], -0.5, v[46:47]
	v_fma_f64 v[46:47], v[80:81], -0.5, v[46:47]
	v_add_f64 v[52:53], v[84:85], v[86:87]
	v_add_f64 v[54:55], v[88:89], v[90:91]
	v_add_f64 v[76:77], v[22:23], -v[26:27]
	v_fma_f64 v[96:97], v[60:61], s[2:3], v[40:41]
	v_fma_f64 v[98:99], v[62:63], s[8:9], v[42:43]
	;; [unrolled: 1-line block ×4, first 2 shown]
	v_add_f64 v[22:23], v[26:27], -v[22:23]
	v_fma_f64 v[64:65], v[82:83], s[8:9], v[56:57]
	v_fma_f64 v[56:57], v[82:83], s[2:3], v[56:57]
	v_add_f64 v[26:27], v[70:71], v[26:27]
	v_fma_f64 v[72:73], v[92:93], s[2:3], v[58:59]
	v_fma_f64 v[58:59], v[92:93], s[8:9], v[58:59]
	v_add_f64 v[4:5], v[16:17], v[4:5]
	v_add_f64 v[2:3], v[2:3], v[6:7]
	v_add_f64 v[78:79], v[36:37], -v[30:31]
	v_add_f64 v[16:17], v[100:101], v[102:103]
	v_add_f64 v[0:1], v[0:1], v[104:105]
	v_fma_f64 v[6:7], v[48:49], s[8:9], v[18:19]
	v_fma_f64 v[18:19], v[48:49], s[2:3], v[18:19]
	v_add_f64 v[94:95], v[30:31], -v[36:37]
	v_add_f64 v[24:25], v[24:25], v[28:29]
	v_fma_f64 v[80:81], v[62:63], s[16:17], v[96:97]
	v_fma_f64 v[84:85], v[60:61], s[16:17], v[98:99]
	;; [unrolled: 1-line block ×4, first 2 shown]
	v_add_f64 v[60:61], v[66:67], v[68:69]
	v_fma_f64 v[62:63], v[50:51], s[2:3], v[32:33]
	v_fma_f64 v[32:33], v[50:51], s[8:9], v[32:33]
	;; [unrolled: 1-line block ×10, first 2 shown]
	v_add_f64 v[26:27], v[26:27], v[30:31]
	v_add_f64 v[4:5], v[4:5], v[8:9]
	;; [unrolled: 1-line block ×3, first 2 shown]
	v_fma_f64 v[6:7], v[50:51], s[10:11], v[6:7]
	v_fma_f64 v[8:9], v[50:51], s[16:17], v[18:19]
	v_add_f64 v[22:23], v[22:23], v[94:95]
	v_add_f64 v[24:25], v[24:25], v[38:39]
	v_fma_f64 v[72:73], v[52:53], s[0:1], v[80:81]
	v_fma_f64 v[80:81], v[54:55], s[0:1], v[84:85]
	v_fma_f64 v[42:43], v[54:55], s[0:1], v[42:43]
	v_fma_f64 v[40:41], v[52:53], s[0:1], v[40:41]
	v_add_f64 v[52:53], v[76:77], v[78:79]
	v_fma_f64 v[10:11], v[48:49], s[10:11], v[62:63]
	v_fma_f64 v[18:19], v[48:49], s[16:17], v[32:33]
	;; [unrolled: 1-line block ×10, first 2 shown]
	v_add_f64 v[26:27], v[26:27], v[36:37]
	v_add_f64 v[4:5], v[4:5], v[12:13]
	;; [unrolled: 1-line block ×3, first 2 shown]
	v_fma_f64 v[36:37], v[34:35], s[0:1], v[6:7]
	v_fma_f64 v[34:35], v[34:35], s[0:1], v[8:9]
	v_mul_f64 v[48:49], v[72:73], s[10:11]
	v_mul_f64 v[58:59], v[72:73], s[18:19]
	v_mul_f64 v[50:51], v[80:81], s[8:9]
	v_mul_f64 v[62:63], v[80:81], s[0:1]
	v_mul_f64 v[54:55], v[42:43], s[8:9]
	v_mul_f64 v[42:43], v[42:43], s[20:21]
	v_mul_f64 v[56:57], v[40:41], s[10:11]
	v_mul_f64 v[40:41], v[40:41], s[22:23]
	v_fma_f64 v[64:65], v[52:53], s[0:1], v[28:29]
	v_fma_f64 v[38:39], v[60:61], s[0:1], v[10:11]
	;; [unrolled: 1-line block ×6, first 2 shown]
	v_add_f64 v[2:3], v[26:27], v[12:13]
	v_add_f64 v[6:7], v[26:27], -v[12:13]
	v_fma_f64 v[28:29], v[44:45], s[18:19], v[48:49]
	v_fma_f64 v[44:45], v[44:45], s[16:17], v[58:59]
	;; [unrolled: 1-line block ×8, first 2 shown]
	v_add_f64 v[0:1], v[24:25], v[4:5]
	v_add_f64 v[4:5], v[24:25], -v[4:5]
	v_add_f64 v[8:9], v[36:37], v[28:29]
	v_add_f64 v[10:11], v[64:65], v[44:45]
	;; [unrolled: 1-line block ×8, first 2 shown]
	v_add_f64 v[24:25], v[36:37], -v[28:29]
	v_add_f64 v[26:27], v[64:65], -v[44:45]
	;; [unrolled: 1-line block ×8, first 2 shown]
	ds_write_b128 v249, v[0:3]
	ds_write_b128 v249, v[4:7] offset:5440
	ds_write_b128 v249, v[8:11] offset:1088
	;; [unrolled: 1-line block ×9, first 2 shown]
	s_waitcnt lgkmcnt(0)
	s_barrier
	buffer_gl0_inv
	s_and_b32 exec_lo, exec_lo, vcc_lo
	s_cbranch_execz .LBB0_23
; %bb.22:
	v_lshlrev_b32_e32 v18, 4, v254
	v_mad_u64_u32 v[14:15], null, s6, v156, 0
	s_mov_b32 s0, 0x18181818
	s_mov_b32 s1, 0x3f581818
	global_load_dwordx4 v[0:3], v18, s[12:13]
	ds_read_b128 v[4:7], v249
	ds_read_b128 v[8:11], v249 offset:640
	s_mul_i32 s2, s5, 0x280
	s_mul_hi_u32 s6, s4, 0x280
	s_mul_i32 s3, s4, 0x280
	s_add_i32 s2, s6, s2
	v_add_co_u32 v20, s6, s12, v18
	v_add_co_ci_u32_e64 v21, null, s13, 0, s6
	s_waitcnt vmcnt(0) lgkmcnt(1)
	v_mul_f64 v[12:13], v[6:7], v[2:3]
	v_mul_f64 v[2:3], v[4:5], v[2:3]
	v_fma_f64 v[4:5], v[4:5], v[0:1], v[12:13]
	v_fma_f64 v[0:1], v[0:1], v[6:7], -v[2:3]
	v_mad_u64_u32 v[6:7], null, s4, v254, 0
	v_mov_b32_e32 v2, v15
	v_mov_b32_e32 v3, v7
	v_mad_u64_u32 v[12:13], null, s7, v156, v[2:3]
	v_mad_u64_u32 v[16:17], null, s5, v254, v[3:4]
	v_mov_b32_e32 v15, v12
	v_mul_f64 v[2:3], v[4:5], s[0:1]
	v_mul_f64 v[4:5], v[0:1], s[0:1]
	v_lshlrev_b64 v[0:1], 4, v[14:15]
	v_mov_b32_e32 v7, v16
	v_add_co_u32 v0, vcc_lo, s14, v0
	v_lshlrev_b64 v[6:7], 4, v[6:7]
	v_add_co_ci_u32_e32 v1, vcc_lo, s15, v1, vcc_lo
	v_add_co_u32 v6, vcc_lo, v0, v6
	v_add_co_ci_u32_e32 v7, vcc_lo, v1, v7, vcc_lo
	v_add_co_u32 v14, vcc_lo, v6, s3
	global_store_dwordx4 v[6:7], v[2:5], off
	global_load_dwordx4 v[2:5], v18, s[12:13] offset:640
	v_add_co_ci_u32_e32 v15, vcc_lo, s2, v7, vcc_lo
	s_waitcnt vmcnt(0) lgkmcnt(0)
	v_mul_f64 v[12:13], v[10:11], v[4:5]
	v_mul_f64 v[4:5], v[8:9], v[4:5]
	v_fma_f64 v[8:9], v[8:9], v[2:3], v[12:13]
	v_fma_f64 v[4:5], v[2:3], v[10:11], -v[4:5]
	v_mul_f64 v[2:3], v[8:9], s[0:1]
	v_mul_f64 v[4:5], v[4:5], s[0:1]
	global_store_dwordx4 v[14:15], v[2:5], off
	global_load_dwordx4 v[2:5], v18, s[12:13] offset:1280
	ds_read_b128 v[6:9], v249 offset:1280
	ds_read_b128 v[10:13], v249 offset:1920
	s_waitcnt vmcnt(0) lgkmcnt(1)
	v_mul_f64 v[16:17], v[8:9], v[4:5]
	v_mul_f64 v[4:5], v[6:7], v[4:5]
	v_fma_f64 v[6:7], v[6:7], v[2:3], v[16:17]
	v_fma_f64 v[4:5], v[2:3], v[8:9], -v[4:5]
	v_mul_f64 v[2:3], v[6:7], s[0:1]
	v_mul_f64 v[4:5], v[4:5], s[0:1]
	v_add_co_u32 v6, vcc_lo, v14, s3
	v_add_co_ci_u32_e32 v7, vcc_lo, s2, v15, vcc_lo
	v_add_co_u32 v14, vcc_lo, v6, s3
	v_add_co_ci_u32_e32 v15, vcc_lo, s2, v7, vcc_lo
	v_add_co_u32 v16, vcc_lo, 0x800, v20
	v_add_co_ci_u32_e32 v17, vcc_lo, 0, v21, vcc_lo
	global_store_dwordx4 v[6:7], v[2:5], off
	global_load_dwordx4 v[2:5], v18, s[12:13] offset:1920
	s_waitcnt vmcnt(0) lgkmcnt(0)
	v_mul_f64 v[8:9], v[12:13], v[4:5]
	v_mul_f64 v[4:5], v[10:11], v[4:5]
	v_fma_f64 v[8:9], v[10:11], v[2:3], v[8:9]
	v_fma_f64 v[4:5], v[2:3], v[12:13], -v[4:5]
	v_mul_f64 v[2:3], v[8:9], s[0:1]
	v_mul_f64 v[4:5], v[4:5], s[0:1]
	global_store_dwordx4 v[14:15], v[2:5], off
	global_load_dwordx4 v[2:5], v[16:17], off offset:512
	ds_read_b128 v[6:9], v249 offset:2560
	ds_read_b128 v[10:13], v249 offset:3200
	s_waitcnt vmcnt(0) lgkmcnt(1)
	v_mul_f64 v[18:19], v[8:9], v[4:5]
	v_mul_f64 v[4:5], v[6:7], v[4:5]
	v_fma_f64 v[6:7], v[6:7], v[2:3], v[18:19]
	v_fma_f64 v[4:5], v[2:3], v[8:9], -v[4:5]
	v_mul_f64 v[2:3], v[6:7], s[0:1]
	v_mul_f64 v[4:5], v[4:5], s[0:1]
	v_add_co_u32 v6, vcc_lo, v14, s3
	v_add_co_ci_u32_e32 v7, vcc_lo, s2, v15, vcc_lo
	v_add_co_u32 v14, vcc_lo, v6, s3
	v_add_co_ci_u32_e32 v15, vcc_lo, s2, v7, vcc_lo
	global_store_dwordx4 v[6:7], v[2:5], off
	global_load_dwordx4 v[2:5], v[16:17], off offset:1152
	s_waitcnt vmcnt(0) lgkmcnt(0)
	v_mul_f64 v[8:9], v[12:13], v[4:5]
	v_mul_f64 v[4:5], v[10:11], v[4:5]
	v_fma_f64 v[8:9], v[10:11], v[2:3], v[8:9]
	v_fma_f64 v[4:5], v[2:3], v[12:13], -v[4:5]
	v_mul_f64 v[2:3], v[8:9], s[0:1]
	v_mul_f64 v[4:5], v[4:5], s[0:1]
	global_store_dwordx4 v[14:15], v[2:5], off
	global_load_dwordx4 v[2:5], v[16:17], off offset:1792
	ds_read_b128 v[6:9], v249 offset:3840
	ds_read_b128 v[10:13], v249 offset:4480
	buffer_load_dword v22, off, s[60:63], 0 offset:68 ; 4-byte Folded Reload
	s_waitcnt vmcnt(1) lgkmcnt(1)
	v_mul_f64 v[16:17], v[8:9], v[4:5]
	v_mul_f64 v[4:5], v[6:7], v[4:5]
	v_fma_f64 v[6:7], v[6:7], v[2:3], v[16:17]
	v_fma_f64 v[4:5], v[2:3], v[8:9], -v[4:5]
	v_mul_f64 v[2:3], v[6:7], s[0:1]
	v_mul_f64 v[4:5], v[4:5], s[0:1]
	v_add_co_u32 v6, vcc_lo, v14, s3
	v_add_co_ci_u32_e32 v7, vcc_lo, s2, v15, vcc_lo
	v_add_co_u32 v14, vcc_lo, 0x1000, v20
	v_add_co_ci_u32_e32 v15, vcc_lo, 0, v21, vcc_lo
	;; [unrolled: 2-line block ×3, first 2 shown]
	global_store_dwordx4 v[6:7], v[2:5], off
	global_load_dwordx4 v[2:5], v[14:15], off offset:384
	s_waitcnt vmcnt(1)
	v_lshlrev_b32_e32 v6, 4, v22
	s_waitcnt vmcnt(0) lgkmcnt(0)
	v_mul_f64 v[8:9], v[12:13], v[4:5]
	v_mul_f64 v[4:5], v[10:11], v[4:5]
	v_fma_f64 v[8:9], v[10:11], v[2:3], v[8:9]
	v_fma_f64 v[4:5], v[2:3], v[12:13], -v[4:5]
	v_mul_f64 v[2:3], v[8:9], s[0:1]
	v_mul_f64 v[4:5], v[4:5], s[0:1]
	global_store_dwordx4 v[16:17], v[2:5], off
	global_load_dwordx4 v[2:5], v6, s[12:13]
	ds_read_b128 v[6:9], v249 offset:5120
	ds_read_b128 v[10:13], v249 offset:5760
	s_waitcnt vmcnt(0) lgkmcnt(1)
	v_mul_f64 v[18:19], v[8:9], v[4:5]
	v_mul_f64 v[4:5], v[6:7], v[4:5]
	v_fma_f64 v[6:7], v[6:7], v[2:3], v[18:19]
	v_fma_f64 v[4:5], v[2:3], v[8:9], -v[4:5]
	v_mad_u64_u32 v[8:9], null, s4, v22, 0
	v_mov_b32_e32 v2, v9
	v_mad_u64_u32 v[18:19], null, s5, v22, v[2:3]
	v_mul_f64 v[2:3], v[6:7], s[0:1]
	v_mul_f64 v[4:5], v[4:5], s[0:1]
	v_mov_b32_e32 v9, v18
	v_lshlrev_b64 v[6:7], 4, v[8:9]
	v_add_co_u32 v6, vcc_lo, v0, v6
	v_add_co_ci_u32_e32 v7, vcc_lo, v1, v7, vcc_lo
	global_store_dwordx4 v[6:7], v[2:5], off
	global_load_dwordx4 v[2:5], v[14:15], off offset:1664
	v_mad_u64_u32 v[14:15], null, 0x500, s4, v[16:17]
	v_add_co_u32 v16, vcc_lo, 0x1800, v20
	v_add_co_ci_u32_e32 v17, vcc_lo, 0, v21, vcc_lo
	s_waitcnt vmcnt(0) lgkmcnt(0)
	v_mul_f64 v[6:7], v[12:13], v[4:5]
	v_mul_f64 v[4:5], v[10:11], v[4:5]
	v_fma_f64 v[6:7], v[10:11], v[2:3], v[6:7]
	v_fma_f64 v[4:5], v[2:3], v[12:13], -v[4:5]
	v_mul_f64 v[2:3], v[6:7], s[0:1]
	v_mul_f64 v[4:5], v[4:5], s[0:1]
	v_mov_b32_e32 v6, v15
	v_mad_u64_u32 v[6:7], null, 0x500, s5, v[6:7]
	v_mov_b32_e32 v15, v6
	global_store_dwordx4 v[14:15], v[2:5], off
	global_load_dwordx4 v[2:5], v[16:17], off offset:256
	ds_read_b128 v[6:9], v249 offset:6400
	ds_read_b128 v[10:13], v249 offset:7040
	s_waitcnt vmcnt(0) lgkmcnt(1)
	v_mul_f64 v[18:19], v[8:9], v[4:5]
	v_mul_f64 v[4:5], v[6:7], v[4:5]
	v_fma_f64 v[6:7], v[6:7], v[2:3], v[18:19]
	v_fma_f64 v[4:5], v[2:3], v[8:9], -v[4:5]
	v_mul_f64 v[2:3], v[6:7], s[0:1]
	v_mul_f64 v[4:5], v[4:5], s[0:1]
	v_add_co_u32 v6, vcc_lo, v14, s3
	v_add_co_ci_u32_e32 v7, vcc_lo, s2, v15, vcc_lo
	v_add_co_u32 v14, vcc_lo, v6, s3
	v_add_co_ci_u32_e32 v15, vcc_lo, s2, v7, vcc_lo
	global_store_dwordx4 v[6:7], v[2:5], off
	global_load_dwordx4 v[2:5], v[16:17], off offset:896
	s_waitcnt vmcnt(0) lgkmcnt(0)
	v_mul_f64 v[8:9], v[12:13], v[4:5]
	v_mul_f64 v[4:5], v[10:11], v[4:5]
	v_fma_f64 v[8:9], v[10:11], v[2:3], v[8:9]
	v_fma_f64 v[4:5], v[2:3], v[12:13], -v[4:5]
	v_mul_f64 v[2:3], v[8:9], s[0:1]
	v_mul_f64 v[4:5], v[4:5], s[0:1]
	global_store_dwordx4 v[14:15], v[2:5], off
	global_load_dwordx4 v[2:5], v[16:17], off offset:1536
	ds_read_b128 v[6:9], v249 offset:7680
	ds_read_b128 v[10:13], v249 offset:8320
	s_waitcnt vmcnt(0) lgkmcnt(1)
	v_mul_f64 v[16:17], v[8:9], v[4:5]
	v_mul_f64 v[4:5], v[6:7], v[4:5]
	v_fma_f64 v[6:7], v[6:7], v[2:3], v[16:17]
	v_fma_f64 v[4:5], v[2:3], v[8:9], -v[4:5]
	v_mul_f64 v[2:3], v[6:7], s[0:1]
	v_mul_f64 v[4:5], v[4:5], s[0:1]
	v_add_co_u32 v6, vcc_lo, v14, s3
	v_add_co_ci_u32_e32 v7, vcc_lo, s2, v15, vcc_lo
	v_add_co_u32 v14, vcc_lo, 0x2000, v20
	v_add_co_ci_u32_e32 v15, vcc_lo, 0, v21, vcc_lo
	;; [unrolled: 2-line block ×3, first 2 shown]
	global_store_dwordx4 v[6:7], v[2:5], off
	global_load_dwordx4 v[2:5], v[14:15], off offset:128
	s_waitcnt vmcnt(0) lgkmcnt(0)
	v_mul_f64 v[8:9], v[12:13], v[4:5]
	v_mul_f64 v[4:5], v[10:11], v[4:5]
	v_fma_f64 v[8:9], v[10:11], v[2:3], v[8:9]
	v_fma_f64 v[4:5], v[2:3], v[12:13], -v[4:5]
	v_mul_f64 v[2:3], v[8:9], s[0:1]
	v_mul_f64 v[4:5], v[4:5], s[0:1]
	global_store_dwordx4 v[16:17], v[2:5], off
	global_load_dwordx4 v[2:5], v[14:15], off offset:768
	ds_read_b128 v[6:9], v249 offset:8960
	ds_read_b128 v[10:13], v249 offset:9600
	s_waitcnt vmcnt(0) lgkmcnt(1)
	v_mul_f64 v[18:19], v[8:9], v[4:5]
	v_mul_f64 v[4:5], v[6:7], v[4:5]
	v_fma_f64 v[6:7], v[6:7], v[2:3], v[18:19]
	v_fma_f64 v[4:5], v[2:3], v[8:9], -v[4:5]
	v_mul_f64 v[2:3], v[6:7], s[0:1]
	v_mul_f64 v[4:5], v[4:5], s[0:1]
	v_add_co_u32 v6, vcc_lo, v16, s3
	v_add_co_ci_u32_e32 v7, vcc_lo, s2, v17, vcc_lo
	global_store_dwordx4 v[6:7], v[2:5], off
	global_load_dwordx4 v[2:5], v[14:15], off offset:1408
	v_add_co_u32 v6, vcc_lo, v6, s3
	v_add_co_ci_u32_e32 v7, vcc_lo, s2, v7, vcc_lo
	s_waitcnt vmcnt(0) lgkmcnt(0)
	v_mul_f64 v[8:9], v[12:13], v[4:5]
	v_mul_f64 v[4:5], v[10:11], v[4:5]
	v_fma_f64 v[8:9], v[10:11], v[2:3], v[8:9]
	v_fma_f64 v[4:5], v[2:3], v[12:13], -v[4:5]
	buffer_load_dword v12, off, s[60:63], 0 offset:64 ; 4-byte Folded Reload
	v_mul_f64 v[2:3], v[8:9], s[0:1]
	v_mul_f64 v[4:5], v[4:5], s[0:1]
	global_store_dwordx4 v[6:7], v[2:5], off
	s_waitcnt vmcnt(0)
	v_lshlrev_b32_e32 v8, 4, v12
	global_load_dwordx4 v[2:5], v8, s[12:13]
	ds_read_b128 v[6:9], v249 offset:10240
	s_waitcnt vmcnt(0) lgkmcnt(0)
	v_mul_f64 v[10:11], v[8:9], v[4:5]
	v_mul_f64 v[4:5], v[6:7], v[4:5]
	v_fma_f64 v[6:7], v[6:7], v[2:3], v[10:11]
	v_fma_f64 v[4:5], v[2:3], v[8:9], -v[4:5]
	v_mad_u64_u32 v[8:9], null, s4, v12, 0
	v_mov_b32_e32 v2, v9
	v_mad_u64_u32 v[9:10], null, s5, v12, v[2:3]
	v_mul_f64 v[2:3], v[6:7], s[0:1]
	v_mul_f64 v[4:5], v[4:5], s[0:1]
	v_lshlrev_b64 v[6:7], 4, v[8:9]
	v_add_co_u32 v0, vcc_lo, v0, v6
	v_add_co_ci_u32_e32 v1, vcc_lo, v1, v7, vcc_lo
	global_store_dwordx4 v[0:1], v[2:5], off
.LBB0_23:
	s_endpgm
	.section	.rodata,"a",@progbits
	.p2align	6, 0x0
	.amdhsa_kernel bluestein_single_back_len680_dim1_dp_op_CI_CI
		.amdhsa_group_segment_fixed_size 32640
		.amdhsa_private_segment_fixed_size 524
		.amdhsa_kernarg_size 104
		.amdhsa_user_sgpr_count 6
		.amdhsa_user_sgpr_private_segment_buffer 1
		.amdhsa_user_sgpr_dispatch_ptr 0
		.amdhsa_user_sgpr_queue_ptr 0
		.amdhsa_user_sgpr_kernarg_segment_ptr 1
		.amdhsa_user_sgpr_dispatch_id 0
		.amdhsa_user_sgpr_flat_scratch_init 0
		.amdhsa_user_sgpr_private_segment_size 0
		.amdhsa_wavefront_size32 1
		.amdhsa_uses_dynamic_stack 0
		.amdhsa_system_sgpr_private_segment_wavefront_offset 1
		.amdhsa_system_sgpr_workgroup_id_x 1
		.amdhsa_system_sgpr_workgroup_id_y 0
		.amdhsa_system_sgpr_workgroup_id_z 0
		.amdhsa_system_sgpr_workgroup_info 0
		.amdhsa_system_vgpr_workitem_id 0
		.amdhsa_next_free_vgpr 256
		.amdhsa_next_free_sgpr 64
		.amdhsa_reserve_vcc 1
		.amdhsa_reserve_flat_scratch 0
		.amdhsa_float_round_mode_32 0
		.amdhsa_float_round_mode_16_64 0
		.amdhsa_float_denorm_mode_32 3
		.amdhsa_float_denorm_mode_16_64 3
		.amdhsa_dx10_clamp 1
		.amdhsa_ieee_mode 1
		.amdhsa_fp16_overflow 0
		.amdhsa_workgroup_processor_mode 1
		.amdhsa_memory_ordered 1
		.amdhsa_forward_progress 0
		.amdhsa_shared_vgpr_count 0
		.amdhsa_exception_fp_ieee_invalid_op 0
		.amdhsa_exception_fp_denorm_src 0
		.amdhsa_exception_fp_ieee_div_zero 0
		.amdhsa_exception_fp_ieee_overflow 0
		.amdhsa_exception_fp_ieee_underflow 0
		.amdhsa_exception_fp_ieee_inexact 0
		.amdhsa_exception_int_div_zero 0
	.end_amdhsa_kernel
	.text
.Lfunc_end0:
	.size	bluestein_single_back_len680_dim1_dp_op_CI_CI, .Lfunc_end0-bluestein_single_back_len680_dim1_dp_op_CI_CI
                                        ; -- End function
	.section	.AMDGPU.csdata,"",@progbits
; Kernel info:
; codeLenInByte = 28408
; NumSgprs: 66
; NumVgprs: 256
; ScratchSize: 524
; MemoryBound: 0
; FloatMode: 240
; IeeeMode: 1
; LDSByteSize: 32640 bytes/workgroup (compile time only)
; SGPRBlocks: 8
; VGPRBlocks: 31
; NumSGPRsForWavesPerEU: 66
; NumVGPRsForWavesPerEU: 256
; Occupancy: 4
; WaveLimiterHint : 1
; COMPUTE_PGM_RSRC2:SCRATCH_EN: 1
; COMPUTE_PGM_RSRC2:USER_SGPR: 6
; COMPUTE_PGM_RSRC2:TRAP_HANDLER: 0
; COMPUTE_PGM_RSRC2:TGID_X_EN: 1
; COMPUTE_PGM_RSRC2:TGID_Y_EN: 0
; COMPUTE_PGM_RSRC2:TGID_Z_EN: 0
; COMPUTE_PGM_RSRC2:TIDIG_COMP_CNT: 0
	.text
	.p2alignl 6, 3214868480
	.fill 48, 4, 3214868480
	.type	__hip_cuid_14c4f479e2f19fad,@object ; @__hip_cuid_14c4f479e2f19fad
	.section	.bss,"aw",@nobits
	.globl	__hip_cuid_14c4f479e2f19fad
__hip_cuid_14c4f479e2f19fad:
	.byte	0                               ; 0x0
	.size	__hip_cuid_14c4f479e2f19fad, 1

	.ident	"AMD clang version 19.0.0git (https://github.com/RadeonOpenCompute/llvm-project roc-6.4.0 25133 c7fe45cf4b819c5991fe208aaa96edf142730f1d)"
	.section	".note.GNU-stack","",@progbits
	.addrsig
	.addrsig_sym __hip_cuid_14c4f479e2f19fad
	.amdgpu_metadata
---
amdhsa.kernels:
  - .args:
      - .actual_access:  read_only
        .address_space:  global
        .offset:         0
        .size:           8
        .value_kind:     global_buffer
      - .actual_access:  read_only
        .address_space:  global
        .offset:         8
        .size:           8
        .value_kind:     global_buffer
      - .actual_access:  read_only
        .address_space:  global
        .offset:         16
        .size:           8
        .value_kind:     global_buffer
      - .actual_access:  read_only
        .address_space:  global
        .offset:         24
        .size:           8
        .value_kind:     global_buffer
      - .actual_access:  read_only
        .address_space:  global
        .offset:         32
        .size:           8
        .value_kind:     global_buffer
      - .offset:         40
        .size:           8
        .value_kind:     by_value
      - .address_space:  global
        .offset:         48
        .size:           8
        .value_kind:     global_buffer
      - .address_space:  global
        .offset:         56
        .size:           8
        .value_kind:     global_buffer
      - .address_space:  global
        .offset:         64
        .size:           8
        .value_kind:     global_buffer
      - .address_space:  global
        .offset:         72
        .size:           8
        .value_kind:     global_buffer
      - .offset:         80
        .size:           4
        .value_kind:     by_value
      - .address_space:  global
        .offset:         88
        .size:           8
        .value_kind:     global_buffer
      - .address_space:  global
        .offset:         96
        .size:           8
        .value_kind:     global_buffer
    .group_segment_fixed_size: 32640
    .kernarg_segment_align: 8
    .kernarg_segment_size: 104
    .language:       OpenCL C
    .language_version:
      - 2
      - 0
    .max_flat_workgroup_size: 204
    .name:           bluestein_single_back_len680_dim1_dp_op_CI_CI
    .private_segment_fixed_size: 524
    .sgpr_count:     66
    .sgpr_spill_count: 0
    .symbol:         bluestein_single_back_len680_dim1_dp_op_CI_CI.kd
    .uniform_work_group_size: 1
    .uses_dynamic_stack: false
    .vgpr_count:     256
    .vgpr_spill_count: 182
    .wavefront_size: 32
    .workgroup_processor_mode: 1
amdhsa.target:   amdgcn-amd-amdhsa--gfx1030
amdhsa.version:
  - 1
  - 2
...

	.end_amdgpu_metadata
